;; amdgpu-corpus repo=ROCm/rocFFT kind=compiled arch=gfx942 opt=O3
	.text
	.amdgcn_target "amdgcn-amd-amdhsa--gfx942"
	.amdhsa_code_object_version 6
	.protected	bluestein_single_fwd_len1925_dim1_dp_op_CI_CI ; -- Begin function bluestein_single_fwd_len1925_dim1_dp_op_CI_CI
	.globl	bluestein_single_fwd_len1925_dim1_dp_op_CI_CI
	.p2align	8
	.type	bluestein_single_fwd_len1925_dim1_dp_op_CI_CI,@function
bluestein_single_fwd_len1925_dim1_dp_op_CI_CI: ; @bluestein_single_fwd_len1925_dim1_dp_op_CI_CI
; %bb.0:
	s_load_dwordx4 s[4:7], s[0:1], 0x28
	v_mul_u32_u24_e32 v1, 0x4a8, v0
	v_mov_b32_e32 v183, 0
	v_add_u32_sdwa v6, s2, v1 dst_sel:DWORD dst_unused:UNUSED_PAD src0_sel:DWORD src1_sel:WORD_1
	v_mov_b32_e32 v7, v183
	s_waitcnt lgkmcnt(0)
	v_cmp_gt_u64_e32 vcc, s[4:5], v[6:7]
	s_and_saveexec_b64 s[2:3], vcc
	s_cbranch_execz .LBB0_10
; %bb.1:
	s_load_dwordx4 s[8:11], s[0:1], 0x0
	s_load_dwordx4 s[16:19], s[0:1], 0x18
	s_load_dwordx2 s[12:13], s[0:1], 0x38
	v_mov_b32_e32 v2, s6
	v_mov_b32_e32 v3, s7
	;; [unrolled: 1-line block ×3, first 2 shown]
	s_waitcnt lgkmcnt(0)
	s_load_dwordx4 s[0:3], s[16:17], 0x0
	s_load_dwordx4 s[4:7], s[18:19], 0x0
	v_mul_lo_u16_sdwa v1, v1, v4 dst_sel:DWORD dst_unused:UNUSED_PAD src0_sel:WORD_1 src1_sel:DWORD
	v_sub_u16_e32 v182, v0, v1
	v_accvgpr_write_b32 a248, v6
	s_waitcnt lgkmcnt(0)
	v_mad_u64_u32 v[0:1], s[14:15], s2, v6, 0
	v_mov_b32_e32 v4, v1
	v_mad_u64_u32 v[4:5], s[2:3], s3, v6, v[4:5]
	v_mov_b32_e32 v1, v4
	;; [unrolled: 2-line block ×4, first 2 shown]
	v_lshl_add_u64 v[0:1], v[0:1], 4, v[2:3]
	v_lshl_add_u64 v[10:11], v[4:5], 4, v[0:1]
	v_lshlrev_b32_e32 v180, 4, v182
	global_load_dwordx4 v[2:5], v[10:11], off
	global_load_dwordx4 v[12:15], v180, s[8:9]
	v_mov_b32_e32 v18, 0x1130
	v_mov_b32_e32 v181, v183
	v_lshl_add_u64 v[0:1], s[8:9], 0, v[180:181]
	s_mov_b32 s26, 0x37e14327
	s_mov_b32 s28, 0xe976ee23
	;; [unrolled: 1-line block ×14, first 2 shown]
	v_lshl_add_u64 v[202:203], v[182:183], 0, 55
	s_waitcnt vmcnt(0)
	scratch_store_dwordx4 off, v[12:15], off offset:264 ; 16-byte Folded Spill
	v_mul_f64 v[6:7], v[4:5], v[14:15]
	v_fmac_f64_e32 v[6:7], v[2:3], v[12:13]
	v_mul_f64 v[2:3], v[2:3], v[14:15]
	v_fma_f64 v[8:9], v[4:5], v[12:13], -v[2:3]
	v_mad_u64_u32 v[2:3], s[2:3], s0, v18, v[10:11]
	s_movk_i32 s3, 0x1000
	s_mul_i32 s2, s1, 0x1130
	v_add_co_u32_e32 v4, vcc, s3, v0
	v_add_u32_e32 v3, s2, v3
	s_nop 0
	v_addc_co_u32_e32 v5, vcc, 0, v1, vcc
	ds_write_b128 v180, v[6:9]
	global_load_dwordx4 v[6:9], v[2:3], off
	global_load_dwordx4 v[12:15], v[4:5], off offset:304
	s_movk_i32 s3, 0x2000
	s_mulk_i32 s1, 0x9c50
	s_sub_i32 s1, s1, s0
	s_waitcnt vmcnt(0)
	v_mul_f64 v[10:11], v[8:9], v[14:15]
	v_fmac_f64_e32 v[10:11], v[6:7], v[12:13]
	v_mul_f64 v[6:7], v[6:7], v[14:15]
	scratch_store_dwordx4 off, v[12:15], off ; 16-byte Folded Spill
	s_nop 1
	v_mad_u64_u32 v[14:15], s[14:15], s0, v18, v[2:3]
	v_add_co_u32_e32 v2, vcc, s3, v0
	v_add_u32_e32 v15, s2, v15
	s_nop 0
	v_addc_co_u32_e32 v3, vcc, 0, v1, vcc
	v_fma_f64 v[12:13], v[8:9], v[12:13], -v[6:7]
	global_load_dwordx4 v[6:9], v[14:15], off
	global_load_dwordx4 v[20:23], v[2:3], off offset:608
	ds_write_b128 v180, v[10:13] offset:4400
	s_movk_i32 s3, 0x3000
	v_mad_u64_u32 v[16:17], s[14:15], s0, v18, v[14:15]
	v_add_u32_e32 v17, s2, v17
	s_waitcnt vmcnt(0)
	v_mul_f64 v[10:11], v[8:9], v[22:23]
	v_fmac_f64_e32 v[10:11], v[6:7], v[20:21]
	v_mul_f64 v[6:7], v[6:7], v[22:23]
	v_fma_f64 v[12:13], v[8:9], v[20:21], -v[6:7]
	ds_write_b128 v180, v[10:13] offset:8800
	v_add_co_u32_e32 v10, vcc, s3, v0
	scratch_store_dwordx4 off, v[20:23], off offset:16 ; 16-byte Folded Spill
	s_nop 0
	v_addc_co_u32_e32 v11, vcc, 0, v1, vcc
	global_load_dwordx4 v[6:9], v[16:17], off
	global_load_dwordx4 v[20:23], v[10:11], off offset:912
	s_movk_i32 s3, 0x4000
	s_waitcnt vmcnt(0)
	v_mul_f64 v[12:13], v[8:9], v[22:23]
	v_fmac_f64_e32 v[12:13], v[6:7], v[20:21]
	v_mul_f64 v[6:7], v[6:7], v[22:23]
	v_fma_f64 v[14:15], v[8:9], v[20:21], -v[6:7]
	v_mad_u64_u32 v[8:9], s[14:15], s0, v18, v[16:17]
	v_add_co_u32_e32 v6, vcc, s3, v0
	v_add_u32_e32 v9, s2, v9
	s_nop 0
	v_addc_co_u32_e32 v7, vcc, 0, v1, vcc
	scratch_store_dwordx4 off, v[20:23], off offset:32 ; 16-byte Folded Spill
	ds_write_b128 v180, v[12:15] offset:13200
	global_load_dwordx4 v[12:15], v[8:9], off
	global_load_dwordx4 v[22:25], v[6:7], off offset:1216
	s_movk_i32 s3, 0x5000
	v_mad_u64_u32 v[8:9], s[14:15], s0, v18, v[8:9]
	v_add_u32_e32 v9, s2, v9
	s_waitcnt vmcnt(0)
	v_mul_f64 v[20:21], v[14:15], v[24:25]
	v_fmac_f64_e32 v[20:21], v[12:13], v[22:23]
	v_mul_f64 v[12:13], v[12:13], v[24:25]
	scratch_store_dwordx4 off, v[22:25], off offset:64 ; 16-byte Folded Spill
	s_nop 1
	v_fma_f64 v[22:23], v[14:15], v[22:23], -v[12:13]
	v_add_co_u32_e32 v12, vcc, s3, v0
	ds_write_b128 v180, v[20:23] offset:17600
	s_nop 0
	v_addc_co_u32_e32 v13, vcc, 0, v1, vcc
	global_load_dwordx4 v[14:17], v[8:9], off
	global_load_dwordx4 v[22:25], v[12:13], off offset:1520
	s_movk_i32 s3, 0x6000
	s_waitcnt vmcnt(0)
	v_mul_f64 v[20:21], v[16:17], v[24:25]
	v_fmac_f64_e32 v[20:21], v[14:15], v[22:23]
	v_mul_f64 v[14:15], v[14:15], v[24:25]
	scratch_store_dwordx4 off, v[22:25], off offset:48 ; 16-byte Folded Spill
	s_nop 1
	v_mad_u64_u32 v[24:25], s[14:15], s0, v18, v[8:9]
	v_add_co_u32_e32 v8, vcc, s3, v0
	v_add_u32_e32 v25, s2, v25
	s_nop 0
	v_addc_co_u32_e32 v9, vcc, 0, v1, vcc
	v_fma_f64 v[22:23], v[16:17], v[22:23], -v[14:15]
	global_load_dwordx4 v[14:17], v[24:25], off
	global_load_dwordx4 v[26:29], v[8:9], off offset:1824
	ds_write_b128 v180, v[20:23] offset:22000
	s_movk_i32 s3, 0x7000
	s_waitcnt vmcnt(0)
	v_mul_f64 v[20:21], v[16:17], v[28:29]
	v_fmac_f64_e32 v[20:21], v[14:15], v[26:27]
	v_mul_f64 v[14:15], v[14:15], v[28:29]
	v_fma_f64 v[22:23], v[16:17], v[26:27], -v[14:15]
	v_mov_b32_e32 v16, 0xffff9c50
	v_mad_u64_u32 v[14:15], s[14:15], s0, v16, v[24:25]
	scratch_store_dwordx4 off, v[26:29], off offset:80 ; 16-byte Folded Spill
	ds_write_b128 v180, v[20:23] offset:26400
	v_add_u32_e32 v15, s1, v15
	global_load_dwordx4 v[20:23], v[14:15], off
	global_load_dwordx4 v[26:29], v180, s[8:9] offset:880
	v_mad_u64_u32 v[14:15], s[14:15], s0, v18, v[14:15]
	v_add_u32_e32 v15, s2, v15
	s_waitcnt vmcnt(0)
	v_mul_f64 v[24:25], v[22:23], v[28:29]
	v_fmac_f64_e32 v[24:25], v[20:21], v[26:27]
	v_mul_f64 v[20:21], v[20:21], v[28:29]
	scratch_store_dwordx4 off, v[26:29], off offset:96 ; 16-byte Folded Spill
	s_nop 1
	v_fma_f64 v[26:27], v[22:23], v[26:27], -v[20:21]
	ds_write_b128 v180, v[24:27] offset:880
	global_load_dwordx4 v[20:23], v[14:15], off
	global_load_dwordx4 v[26:29], v[4:5], off offset:1184
	v_mad_u64_u32 v[14:15], s[14:15], s0, v18, v[14:15]
	v_add_u32_e32 v15, s2, v15
	s_waitcnt vmcnt(0)
	v_mul_f64 v[24:25], v[22:23], v[28:29]
	v_fmac_f64_e32 v[24:25], v[20:21], v[26:27]
	v_mul_f64 v[20:21], v[20:21], v[28:29]
	scratch_store_dwordx4 off, v[26:29], off offset:112 ; 16-byte Folded Spill
	s_nop 1
	v_fma_f64 v[26:27], v[22:23], v[26:27], -v[20:21]
	ds_write_b128 v180, v[24:27] offset:5280
	global_load_dwordx4 v[20:23], v[14:15], off
	global_load_dwordx4 v[26:29], v[2:3], off offset:1488
	;; [unrolled: 12-line block ×5, first 2 shown]
	v_mad_u64_u32 v[14:15], s[14:15], s0, v18, v[14:15]
	v_add_u32_e32 v15, s2, v15
	s_mov_b64 s[14:15], 0x6e
	v_lshl_add_u64 v[206:207], v[182:183], 0, s[14:15]
	s_waitcnt vmcnt(0)
	v_mul_f64 v[24:25], v[22:23], v[28:29]
	v_fmac_f64_e32 v[24:25], v[20:21], v[26:27]
	v_mul_f64 v[20:21], v[20:21], v[28:29]
	scratch_store_dwordx4 off, v[26:29], off offset:176 ; 16-byte Folded Spill
	s_nop 1
	v_fma_f64 v[26:27], v[22:23], v[26:27], -v[20:21]
	ds_write_b128 v180, v[24:27] offset:22880
	global_load_dwordx4 v[20:23], v[14:15], off
	global_load_dwordx4 v[26:29], v[8:9], off offset:2704
	v_mad_u64_u32 v[14:15], s[14:15], s0, v16, v[14:15]
	v_add_u32_e32 v15, s1, v15
	s_waitcnt vmcnt(0)
	v_mul_f64 v[24:25], v[22:23], v[28:29]
	v_fmac_f64_e32 v[24:25], v[20:21], v[26:27]
	v_mul_f64 v[20:21], v[20:21], v[28:29]
	scratch_store_dwordx4 off, v[26:29], off offset:192 ; 16-byte Folded Spill
	s_nop 1
	v_fma_f64 v[26:27], v[22:23], v[26:27], -v[20:21]
	ds_write_b128 v180, v[24:27] offset:27280
	global_load_dwordx4 v[20:23], v[14:15], off
	global_load_dwordx4 v[26:29], v180, s[8:9] offset:1760
	v_mad_u64_u32 v[14:15], s[14:15], s0, v18, v[14:15]
	v_add_u32_e32 v15, s2, v15
	s_waitcnt vmcnt(0)
	v_mul_f64 v[24:25], v[22:23], v[28:29]
	v_fmac_f64_e32 v[24:25], v[20:21], v[26:27]
	v_mul_f64 v[20:21], v[20:21], v[28:29]
	scratch_store_dwordx4 off, v[26:29], off offset:208 ; 16-byte Folded Spill
	s_nop 1
	v_fma_f64 v[26:27], v[22:23], v[26:27], -v[20:21]
	ds_write_b128 v180, v[24:27] offset:1760
	global_load_dwordx4 v[20:23], v[14:15], off
	global_load_dwordx4 v[26:29], v[4:5], off offset:2064
	v_mad_u64_u32 v[14:15], s[14:15], s0, v18, v[14:15]
	v_add_u32_e32 v15, s2, v15
	s_waitcnt vmcnt(0)
	v_mul_f64 v[24:25], v[22:23], v[28:29]
	v_fmac_f64_e32 v[24:25], v[20:21], v[26:27]
	v_mul_f64 v[20:21], v[20:21], v[28:29]
	scratch_store_dwordx4 off, v[26:29], off offset:232 ; 16-byte Folded Spill
	s_nop 1
	v_fma_f64 v[26:27], v[22:23], v[26:27], -v[20:21]
	ds_write_b128 v180, v[24:27] offset:6160
	global_load_dwordx4 v[20:23], v[14:15], off
	global_load_dwordx4 v[26:29], v[2:3], off offset:2368
	;; [unrolled: 12-line block ×5, first 2 shown]
	v_mad_u64_u32 v[14:15], s[14:15], s0, v18, v[14:15]
	v_add_u32_e32 v15, s2, v15
	s_mov_b64 s[14:15], 0xa5
	v_lshl_add_u64 v[162:163], v[182:183], 0, s[14:15]
	v_accvgpr_write_b32 a84, v162
	s_waitcnt vmcnt(0)
	v_mul_f64 v[24:25], v[22:23], v[28:29]
	v_fmac_f64_e32 v[24:25], v[20:21], v[26:27]
	v_mul_f64 v[20:21], v[20:21], v[28:29]
	scratch_store_dwordx4 off, v[26:29], off offset:312 ; 16-byte Folded Spill
	s_nop 1
	v_fma_f64 v[26:27], v[22:23], v[26:27], -v[20:21]
	ds_write_b128 v180, v[24:27] offset:23760
	global_load_dwordx4 v[20:23], v[14:15], off
	global_load_dwordx4 v[26:29], v[8:9], off offset:3584
	v_mad_u64_u32 v[14:15], s[14:15], s0, v16, v[14:15]
	v_add_u32_e32 v15, s1, v15
	s_waitcnt vmcnt(0)
	v_mul_f64 v[24:25], v[22:23], v[28:29]
	v_fmac_f64_e32 v[24:25], v[20:21], v[26:27]
	v_mul_f64 v[20:21], v[20:21], v[28:29]
	scratch_store_dwordx4 off, v[26:29], off offset:328 ; 16-byte Folded Spill
	s_nop 1
	v_fma_f64 v[26:27], v[22:23], v[26:27], -v[20:21]
	ds_write_b128 v180, v[24:27] offset:28160
	global_load_dwordx4 v[20:23], v[14:15], off
	global_load_dwordx4 v[26:29], v180, s[8:9] offset:2640
	v_mad_u64_u32 v[14:15], s[14:15], s0, v18, v[14:15]
	v_add_u32_e32 v15, s2, v15
	s_waitcnt vmcnt(0)
	v_mul_f64 v[24:25], v[22:23], v[28:29]
	v_fmac_f64_e32 v[24:25], v[20:21], v[26:27]
	v_mul_f64 v[20:21], v[20:21], v[28:29]
	scratch_store_dwordx4 off, v[26:29], off offset:360 ; 16-byte Folded Spill
	s_nop 1
	v_fma_f64 v[26:27], v[22:23], v[26:27], -v[20:21]
	ds_write_b128 v180, v[24:27] offset:2640
	global_load_dwordx4 v[20:23], v[14:15], off
	global_load_dwordx4 v[26:29], v[4:5], off offset:2944
	v_mad_u64_u32 v[14:15], s[14:15], s0, v18, v[14:15]
	v_add_u32_e32 v15, s2, v15
	s_waitcnt vmcnt(0)
	v_mul_f64 v[24:25], v[22:23], v[28:29]
	v_fmac_f64_e32 v[24:25], v[20:21], v[26:27]
	v_mul_f64 v[20:21], v[20:21], v[28:29]
	scratch_store_dwordx4 off, v[26:29], off offset:376 ; 16-byte Folded Spill
	s_nop 1
	v_fma_f64 v[26:27], v[22:23], v[26:27], -v[20:21]
	ds_write_b128 v180, v[24:27] offset:7040
	global_load_dwordx4 v[20:23], v[14:15], off
	global_load_dwordx4 v[26:29], v[2:3], off offset:3248
	s_waitcnt vmcnt(0)
	v_mul_f64 v[24:25], v[22:23], v[28:29]
	v_mul_f64 v[2:3], v[20:21], v[28:29]
	v_fmac_f64_e32 v[24:25], v[20:21], v[26:27]
	scratch_store_dwordx4 off, v[26:29], off offset:408 ; 16-byte Folded Spill
	s_nop 1
	v_fma_f64 v[26:27], v[22:23], v[26:27], -v[2:3]
	v_mad_u64_u32 v[2:3], s[14:15], s0, v18, v[14:15]
	ds_write_b128 v180, v[24:27] offset:11440
	v_add_u32_e32 v3, s2, v3
	global_load_dwordx4 v[20:23], v[2:3], off
	global_load_dwordx4 v[26:29], v[10:11], off offset:3552
	v_mad_u64_u32 v[2:3], s[14:15], s0, v18, v[2:3]
	v_add_u32_e32 v3, s2, v3
	s_waitcnt vmcnt(0)
	v_mul_f64 v[24:25], v[22:23], v[28:29]
	v_mul_f64 v[14:15], v[20:21], v[28:29]
	v_fmac_f64_e32 v[24:25], v[20:21], v[26:27]
	scratch_store_dwordx4 off, v[26:29], off offset:424 ; 16-byte Folded Spill
	s_nop 1
	v_fma_f64 v[26:27], v[22:23], v[26:27], -v[14:15]
	ds_write_b128 v180, v[24:27] offset:15840
	global_load_dwordx4 v[20:23], v[2:3], off
	global_load_dwordx4 v[26:29], v[6:7], off offset:3856
	v_mad_u64_u32 v[2:3], s[14:15], s0, v18, v[2:3]
	v_add_u32_e32 v3, s2, v3
	s_waitcnt vmcnt(0)
	v_mul_f64 v[24:25], v[22:23], v[28:29]
	v_mul_f64 v[14:15], v[20:21], v[28:29]
	v_fmac_f64_e32 v[24:25], v[20:21], v[26:27]
	scratch_store_dwordx4 off, v[26:29], off offset:456 ; 16-byte Folded Spill
	s_nop 1
	v_fma_f64 v[26:27], v[22:23], v[26:27], -v[14:15]
	ds_write_b128 v180, v[24:27] offset:20240
	global_load_dwordx4 v[20:23], v[2:3], off
	global_load_dwordx4 v[26:29], v[8:9], off offset:64
	s_waitcnt vmcnt(0)
	v_mul_f64 v[24:25], v[22:23], v[28:29]
	v_mul_f64 v[14:15], v[20:21], v[28:29]
	v_fmac_f64_e32 v[24:25], v[20:21], v[26:27]
	scratch_store_dwordx4 off, v[26:29], off offset:344 ; 16-byte Folded Spill
	s_nop 1
	v_fma_f64 v[26:27], v[22:23], v[26:27], -v[14:15]
	ds_write_b128 v180, v[24:27] offset:24640
	v_mad_u64_u32 v[24:25], s[14:15], s0, v18, v[2:3]
	v_add_co_u32_e32 v14, vcc, s3, v0
	v_add_u32_e32 v25, s2, v25
	s_nop 0
	v_addc_co_u32_e32 v15, vcc, 0, v1, vcc
	global_load_dwordx4 v[20:23], v[24:25], off
	global_load_dwordx4 v[26:29], v[14:15], off offset:368
	s_mov_b64 s[14:15], 0xdc
	v_lshl_add_u64 v[160:161], v[182:183], 0, s[14:15]
	v_mad_u64_u32 v[16:17], s[14:15], s0, v16, v[24:25]
	v_add_u32_e32 v17, s1, v17
	v_accvgpr_write_b32 a214, v160
	v_cmp_gt_u16_e32 vcc, 10, v182
	s_waitcnt vmcnt(0)
	v_mul_f64 v[0:1], v[22:23], v[28:29]
	v_mul_f64 v[2:3], v[20:21], v[28:29]
	v_fmac_f64_e32 v[0:1], v[20:21], v[26:27]
	v_fma_f64 v[2:3], v[22:23], v[26:27], -v[2:3]
	scratch_store_dwordx4 off, v[26:29], off offset:392 ; 16-byte Folded Spill
	ds_write_b128 v180, v[0:3] offset:29040
	global_load_dwordx4 v[0:3], v[16:17], off
	global_load_dwordx4 v[22:25], v180, s[8:9] offset:3520
	v_mad_u64_u32 v[16:17], s[14:15], s0, v18, v[16:17]
	v_add_u32_e32 v17, s2, v17
	s_waitcnt vmcnt(0)
	v_mul_f64 v[20:21], v[2:3], v[24:25]
	v_fmac_f64_e32 v[20:21], v[0:1], v[22:23]
	v_mul_f64 v[0:1], v[0:1], v[24:25]
	scratch_store_dwordx4 off, v[22:25], off offset:440 ; 16-byte Folded Spill
	s_nop 1
	v_fma_f64 v[22:23], v[2:3], v[22:23], -v[0:1]
	ds_write_b128 v180, v[20:23] offset:3520
	global_load_dwordx4 v[0:3], v[16:17], off
	global_load_dwordx4 v[22:25], v[4:5], off offset:3824
	v_mad_u64_u32 v[4:5], s[14:15], s0, v18, v[16:17]
	v_add_u32_e32 v5, s2, v5
	s_waitcnt vmcnt(0)
	v_mul_f64 v[20:21], v[2:3], v[24:25]
	v_fmac_f64_e32 v[20:21], v[0:1], v[22:23]
	v_mul_f64 v[0:1], v[0:1], v[24:25]
	scratch_store_dwordx4 off, v[22:25], off offset:472 ; 16-byte Folded Spill
	s_nop 1
	v_fma_f64 v[22:23], v[2:3], v[22:23], -v[0:1]
	ds_write_b128 v180, v[20:23] offset:7920
	global_load_dwordx4 v[0:3], v[4:5], off
	global_load_dwordx4 v[22:25], v[10:11], off offset:32
	;; [unrolled: 12-line block ×3, first 2 shown]
	v_mad_u64_u32 v[10:11], s[14:15], s0, v18, v[10:11]
	v_add_u32_e32 v11, s2, v11
	s_waitcnt vmcnt(0)
	v_mul_f64 v[4:5], v[2:3], v[22:23]
	v_fmac_f64_e32 v[4:5], v[0:1], v[20:21]
	v_mul_f64 v[0:1], v[0:1], v[22:23]
	v_fma_f64 v[6:7], v[2:3], v[20:21], -v[0:1]
	scratch_store_dwordx4 off, v[20:23], off offset:504 ; 16-byte Folded Spill
	ds_write_b128 v180, v[4:7] offset:16720
	global_load_dwordx4 v[0:3], v[10:11], off
	global_load_dwordx4 v[20:23], v[12:13], off offset:640
	v_mad_u64_u32 v[10:11], s[14:15], s0, v18, v[10:11]
	v_add_u32_e32 v11, s2, v11
	s_mov_b32 s14, 0x429ad128
	s_mov_b32 s15, 0x3febfeb5
	s_waitcnt vmcnt(0)
	v_mul_f64 v[4:5], v[2:3], v[22:23]
	v_fmac_f64_e32 v[4:5], v[0:1], v[20:21]
	v_mul_f64 v[0:1], v[0:1], v[22:23]
	v_fma_f64 v[6:7], v[2:3], v[20:21], -v[0:1]
	scratch_store_dwordx4 off, v[20:23], off offset:520 ; 16-byte Folded Spill
	ds_write_b128 v180, v[4:7] offset:21120
	global_load_dwordx4 v[0:3], v[10:11], off
	s_nop 0
	global_load_dwordx4 v[6:9], v[8:9], off offset:944
	s_waitcnt vmcnt(0)
	v_mul_f64 v[4:5], v[2:3], v[8:9]
	v_fmac_f64_e32 v[4:5], v[0:1], v[6:7]
	v_mul_f64 v[0:1], v[0:1], v[8:9]
	scratch_store_dwordx4 off, v[6:9], off offset:536 ; 16-byte Folded Spill
	s_nop 1
	v_fma_f64 v[6:7], v[2:3], v[6:7], -v[0:1]
	v_mad_u64_u32 v[0:1], s[0:1], s0, v18, v[10:11]
	ds_write_b128 v180, v[4:7] offset:25520
	v_add_u32_e32 v1, s2, v1
	global_load_dwordx4 v[0:3], v[0:1], off
	s_nop 0
	global_load_dwordx4 v[6:9], v[14:15], off offset:1248
	s_mov_b32 s2, 0x36b3c0b5
	s_mov_b32 s3, 0x3fac98ee
	;; [unrolled: 1-line block ×4, first 2 shown]
	s_waitcnt vmcnt(0)
	v_mul_f64 v[4:5], v[2:3], v[8:9]
	v_fmac_f64_e32 v[4:5], v[0:1], v[6:7]
	v_mul_f64 v[0:1], v[0:1], v[8:9]
	scratch_store_dwordx4 off, v[6:9], off offset:552 ; 16-byte Folded Spill
	s_nop 1
	v_fma_f64 v[6:7], v[2:3], v[6:7], -v[0:1]
	ds_write_b128 v180, v[4:7] offset:29920
	s_waitcnt lgkmcnt(0)
	; wave barrier
	s_waitcnt lgkmcnt(0)
	ds_read_b128 v[4:7], v180
	ds_read_b128 v[8:11], v180 offset:4400
	ds_read_b128 v[20:23], v180 offset:8800
	;; [unrolled: 1-line block ×34, first 2 shown]
	s_waitcnt lgkmcnt(14)
	v_add_f64 v[140:141], v[8:9], v[28:29]
	v_add_f64 v[8:9], v[8:9], -v[28:29]
	v_add_f64 v[28:29], v[20:21], v[24:25]
	v_add_f64 v[142:143], v[10:11], v[30:31]
	v_add_f64 v[10:11], v[10:11], -v[30:31]
	v_add_f64 v[30:31], v[22:23], v[26:27]
	v_add_f64 v[20:21], v[20:21], -v[24:25]
	;; [unrolled: 2-line block ×5, first 2 shown]
	v_add_f64 v[18:19], v[30:31], v[142:143]
	v_add_f64 v[16:17], v[24:25], v[16:17]
	;; [unrolled: 1-line block ×4, first 2 shown]
	v_add_f64 v[144:145], v[28:29], -v[140:141]
	v_add_f64 v[146:147], v[30:31], -v[142:143]
	;; [unrolled: 1-line block ×6, first 2 shown]
	v_add_f64 v[148:149], v[12:13], v[20:21]
	v_add_f64 v[150:151], v[14:15], v[22:23]
	v_add_f64 v[152:153], v[12:13], -v[20:21]
	v_add_f64 v[154:155], v[14:15], -v[22:23]
	;; [unrolled: 1-line block ×4, first 2 shown]
	v_add_f64 v[6:7], v[6:7], v[18:19]
	v_mov_b64_e32 v[156:157], v[4:5]
	v_add_f64 v[12:13], v[8:9], -v[12:13]
	v_add_f64 v[14:15], v[10:11], -v[14:15]
	v_add_f64 v[8:9], v[148:149], v[8:9]
	v_add_f64 v[10:11], v[150:151], v[10:11]
	v_mul_f64 v[24:25], v[140:141], s[26:27]
	v_mul_f64 v[26:27], v[142:143], s[26:27]
	;; [unrolled: 1-line block ×8, first 2 shown]
	v_fmac_f64_e32 v[156:157], s[24:25], v[16:17]
	v_mov_b64_e32 v[16:17], v[6:7]
	v_fmac_f64_e32 v[16:17], s[24:25], v[18:19]
	v_fma_f64 v[18:19], v[144:145], s[16:17], -v[140:141]
	v_fma_f64 v[140:141], v[146:147], s[16:17], -v[142:143]
	;; [unrolled: 1-line block ×4, first 2 shown]
	v_fmac_f64_e32 v[148:149], s[20:21], v[12:13]
	v_fma_f64 v[152:153], v[12:13], s[22:23], -v[152:153]
	v_fma_f64 v[12:13], v[14:15], s[22:23], -v[154:155]
	v_fmac_f64_e32 v[24:25], s[2:3], v[28:29]
	v_fma_f64 v[28:29], v[146:147], s[18:19], -v[26:27]
	v_fma_f64 v[146:147], v[22:23], s[14:15], -v[150:151]
	v_fmac_f64_e32 v[150:151], s[20:21], v[14:15]
	v_add_f64 v[14:15], v[18:19], v[156:157]
	v_add_f64 v[18:19], v[140:141], v[16:17]
	;; [unrolled: 1-line block ×3, first 2 shown]
	v_fmac_f64_e32 v[12:13], s[0:1], v[10:11]
	v_fmac_f64_e32 v[26:27], s[2:3], v[30:31]
	v_add_f64 v[154:155], v[24:25], v[156:157]
	v_add_f64 v[142:143], v[28:29], v[16:17]
	v_fmac_f64_e32 v[146:147], s[0:1], v[10:11]
	v_fmac_f64_e32 v[152:153], s[0:1], v[8:9]
	v_add_f64 v[24:25], v[140:141], v[12:13]
	v_add_f64 v[12:13], v[140:141], -v[12:13]
	v_add_f64 v[140:141], v[36:37], v[56:57]
	v_add_f64 v[36:37], v[36:37], -v[56:57]
	v_add_f64 v[56:57], v[44:45], v[52:53]
	v_add_f64 v[158:159], v[26:27], v[16:17]
	v_add_f64 v[26:27], v[142:143], -v[152:153]
	v_add_f64 v[20:21], v[14:15], -v[146:147]
	v_add_f64 v[16:17], v[14:15], v[146:147]
	v_add_f64 v[14:15], v[152:153], v[142:143]
	;; [unrolled: 1-line block ×3, first 2 shown]
	v_add_f64 v[38:39], v[38:39], -v[58:59]
	v_add_f64 v[58:59], v[46:47], v[54:55]
	v_add_f64 v[44:45], v[44:45], -v[52:53]
	v_add_f64 v[52:53], v[40:41], v[48:49]
	;; [unrolled: 2-line block ×5, first 2 shown]
	v_add_f64 v[48:49], v[52:53], v[48:49]
	v_fmac_f64_e32 v[148:149], s[0:1], v[8:9]
	v_fmac_f64_e32 v[150:151], s[0:1], v[10:11]
	;; [unrolled: 1-line block ×3, first 2 shown]
	v_add_f64 v[50:51], v[54:55], v[50:51]
	v_add_f64 v[32:33], v[32:33], v[48:49]
	;; [unrolled: 1-line block ×3, first 2 shown]
	v_add_f64 v[30:31], v[158:159], -v[148:149]
	v_add_f64 v[22:23], v[144:145], v[18:19]
	v_add_f64 v[18:19], v[18:19], -v[144:145]
	v_add_f64 v[8:9], v[154:155], -v[150:151]
	v_add_f64 v[10:11], v[148:149], v[158:159]
	v_add_f64 v[144:145], v[56:57], -v[140:141]
	v_add_f64 v[146:147], v[58:59], -v[142:143]
	;; [unrolled: 1-line block ×6, first 2 shown]
	v_add_f64 v[148:149], v[40:41], v[44:45]
	v_add_f64 v[150:151], v[42:43], v[46:47]
	v_add_f64 v[152:153], v[40:41], -v[44:45]
	v_add_f64 v[154:155], v[42:43], -v[46:47]
	v_add_f64 v[44:45], v[44:45], -v[36:37]
	v_add_f64 v[46:47], v[46:47], -v[38:39]
	v_add_f64 v[34:35], v[34:35], v[50:51]
	v_mov_b64_e32 v[156:157], v[32:33]
	v_add_f64 v[40:41], v[36:37], -v[40:41]
	v_add_f64 v[42:43], v[38:39], -v[42:43]
	v_add_f64 v[36:37], v[148:149], v[36:37]
	v_add_f64 v[38:39], v[150:151], v[38:39]
	v_mul_f64 v[52:53], v[140:141], s[26:27]
	v_mul_f64 v[54:55], v[142:143], s[26:27]
	;; [unrolled: 1-line block ×8, first 2 shown]
	v_fmac_f64_e32 v[156:157], s[24:25], v[48:49]
	v_mov_b64_e32 v[48:49], v[34:35]
	v_fmac_f64_e32 v[48:49], s[24:25], v[50:51]
	v_fma_f64 v[50:51], v[144:145], s[16:17], -v[140:141]
	v_fma_f64 v[140:141], v[146:147], s[16:17], -v[142:143]
	;; [unrolled: 1-line block ×3, first 2 shown]
	v_fmac_f64_e32 v[52:53], s[2:3], v[56:57]
	v_fma_f64 v[56:57], v[146:147], s[18:19], -v[54:55]
	v_fma_f64 v[144:145], v[44:45], s[14:15], -v[148:149]
	v_fmac_f64_e32 v[148:149], s[20:21], v[40:41]
	v_fma_f64 v[146:147], v[40:41], s[22:23], -v[152:153]
	v_fma_f64 v[40:41], v[42:43], s[22:23], -v[154:155]
	v_fma_f64 v[44:45], v[46:47], s[14:15], -v[150:151]
	v_add_f64 v[46:47], v[140:141], v[48:49]
	v_add_f64 v[140:141], v[142:143], v[156:157]
	v_fmac_f64_e32 v[40:41], s[0:1], v[38:39]
	v_fmac_f64_e32 v[54:55], s[2:3], v[58:59]
	;; [unrolled: 1-line block ×3, first 2 shown]
	v_add_f64 v[152:153], v[52:53], v[156:157]
	v_add_f64 v[42:43], v[50:51], v[156:157]
	;; [unrolled: 1-line block ×3, first 2 shown]
	v_fmac_f64_e32 v[44:45], s[0:1], v[38:39]
	v_fmac_f64_e32 v[146:147], s[0:1], v[36:37]
	v_add_f64 v[52:53], v[140:141], v[40:41]
	v_add_f64 v[40:41], v[140:141], -v[40:41]
	v_add_f64 v[140:141], v[72:73], v[88:89]
	v_add_f64 v[72:73], v[72:73], -v[88:89]
	v_add_f64 v[88:89], v[68:69], v[84:85]
	v_add_f64 v[154:155], v[54:55], v[48:49]
	v_add_f64 v[54:55], v[142:143], -v[146:147]
	v_add_f64 v[48:49], v[42:43], -v[44:45]
	v_add_f64 v[44:45], v[42:43], v[44:45]
	v_add_f64 v[42:43], v[146:147], v[142:143]
	;; [unrolled: 1-line block ×3, first 2 shown]
	v_add_f64 v[74:75], v[74:75], -v[90:91]
	v_add_f64 v[90:91], v[70:71], v[86:87]
	v_add_f64 v[68:69], v[68:69], -v[84:85]
	v_add_f64 v[84:85], v[76:77], v[80:81]
	;; [unrolled: 2-line block ×5, first 2 shown]
	v_add_f64 v[80:81], v[84:85], v[80:81]
	v_fmac_f64_e32 v[148:149], s[0:1], v[36:37]
	v_fmac_f64_e32 v[150:151], s[0:1], v[38:39]
	v_fmac_f64_e32 v[144:145], s[0:1], v[36:37]
	v_add_f64 v[82:83], v[86:87], v[82:83]
	v_add_f64 v[64:65], v[64:65], v[80:81]
	;; [unrolled: 1-line block ×3, first 2 shown]
	v_add_f64 v[58:59], v[154:155], -v[148:149]
	v_add_f64 v[50:51], v[144:145], v[46:47]
	v_add_f64 v[46:47], v[46:47], -v[144:145]
	v_add_f64 v[36:37], v[152:153], -v[150:151]
	v_add_f64 v[38:39], v[148:149], v[154:155]
	v_add_f64 v[144:145], v[88:89], -v[140:141]
	v_add_f64 v[146:147], v[90:91], -v[142:143]
	;; [unrolled: 1-line block ×6, first 2 shown]
	v_add_f64 v[150:151], v[78:79], v[70:71]
	v_add_f64 v[154:155], v[78:79], -v[70:71]
	v_add_f64 v[70:71], v[70:71], -v[74:75]
	v_add_f64 v[66:67], v[66:67], v[82:83]
	v_mov_b64_e32 v[156:157], v[64:65]
	v_add_f64 v[148:149], v[76:77], v[68:69]
	v_add_f64 v[152:153], v[76:77], -v[68:69]
	v_add_f64 v[78:79], v[74:75], -v[78:79]
	;; [unrolled: 1-line block ×3, first 2 shown]
	v_add_f64 v[74:75], v[150:151], v[74:75]
	v_mul_f64 v[84:85], v[140:141], s[26:27]
	v_mul_f64 v[86:87], v[142:143], s[26:27]
	;; [unrolled: 1-line block ×6, first 2 shown]
	v_fmac_f64_e32 v[156:157], s[24:25], v[80:81]
	v_mov_b64_e32 v[80:81], v[66:67]
	v_add_f64 v[76:77], v[72:73], -v[76:77]
	v_add_f64 v[72:73], v[148:149], v[72:73]
	v_mul_f64 v[148:149], v[152:153], s[28:29]
	v_mul_f64 v[152:153], v[68:69], s[14:15]
	v_fmac_f64_e32 v[80:81], s[24:25], v[82:83]
	v_fma_f64 v[82:83], v[144:145], s[16:17], -v[140:141]
	v_fma_f64 v[140:141], v[146:147], s[16:17], -v[142:143]
	;; [unrolled: 1-line block ×3, first 2 shown]
	v_fmac_f64_e32 v[84:85], s[2:3], v[88:89]
	v_fma_f64 v[88:89], v[146:147], s[18:19], -v[86:87]
	v_fma_f64 v[146:147], v[78:79], s[22:23], -v[154:155]
	v_fma_f64 v[68:69], v[68:69], s[14:15], -v[148:149]
	v_fmac_f64_e32 v[148:149], s[20:21], v[76:77]
	v_fma_f64 v[70:71], v[70:71], s[14:15], -v[150:151]
	v_fmac_f64_e32 v[150:151], s[20:21], v[78:79]
	v_fma_f64 v[144:145], v[76:77], s[22:23], -v[152:153]
	v_add_f64 v[78:79], v[140:141], v[80:81]
	v_add_f64 v[140:141], v[142:143], v[156:157]
	v_fmac_f64_e32 v[146:147], s[0:1], v[74:75]
	v_fmac_f64_e32 v[86:87], s[2:3], v[90:91]
	v_add_f64 v[152:153], v[84:85], v[156:157]
	v_add_f64 v[142:143], v[88:89], v[80:81]
	v_fmac_f64_e32 v[148:149], s[0:1], v[72:73]
	v_fmac_f64_e32 v[68:69], s[0:1], v[72:73]
	;; [unrolled: 1-line block ×3, first 2 shown]
	v_add_f64 v[84:85], v[140:141], v[146:147]
	v_add_f64 v[72:73], v[140:141], -v[146:147]
	s_waitcnt lgkmcnt(7)
	v_add_f64 v[140:141], v[96:97], v[116:117]
	v_add_f64 v[96:97], v[96:97], -v[116:117]
	v_add_f64 v[116:117], v[108:109], v[112:113]
	v_add_f64 v[154:155], v[86:87], v[80:81]
	v_fmac_f64_e32 v[150:151], s[0:1], v[74:75]
	v_fmac_f64_e32 v[70:71], s[0:1], v[74:75]
	v_add_f64 v[86:87], v[142:143], -v[144:145]
	v_add_f64 v[74:75], v[144:145], v[142:143]
	v_add_f64 v[142:143], v[98:99], v[118:119]
	v_add_f64 v[98:99], v[98:99], -v[118:119]
	v_add_f64 v[118:119], v[110:111], v[114:115]
	v_add_f64 v[108:109], v[108:109], -v[112:113]
	;; [unrolled: 2-line block ×5, first 2 shown]
	v_add_f64 v[106:107], v[118:119], v[142:143]
	v_add_f64 v[104:105], v[112:113], v[104:105]
	;; [unrolled: 1-line block ×6, first 2 shown]
	v_add_f64 v[90:91], v[154:155], -v[148:149]
	v_add_f64 v[80:81], v[76:77], -v[70:71]
	v_add_f64 v[82:83], v[68:69], v[78:79]
	v_add_f64 v[76:77], v[76:77], v[70:71]
	v_add_f64 v[78:79], v[78:79], -v[68:69]
	v_add_f64 v[68:69], v[152:153], -v[150:151]
	v_add_f64 v[70:71], v[148:149], v[154:155]
	v_add_f64 v[144:145], v[116:117], -v[140:141]
	v_add_f64 v[146:147], v[118:119], -v[142:143]
	;; [unrolled: 1-line block ×6, first 2 shown]
	v_add_f64 v[148:149], v[100:101], v[108:109]
	v_add_f64 v[150:151], v[102:103], v[110:111]
	v_add_f64 v[152:153], v[100:101], -v[108:109]
	v_add_f64 v[154:155], v[102:103], -v[110:111]
	;; [unrolled: 1-line block ×4, first 2 shown]
	v_add_f64 v[94:95], v[94:95], v[106:107]
	v_mov_b64_e32 v[156:157], v[92:93]
	v_add_f64 v[100:101], v[96:97], -v[100:101]
	v_add_f64 v[102:103], v[98:99], -v[102:103]
	v_add_f64 v[96:97], v[148:149], v[96:97]
	v_add_f64 v[98:99], v[150:151], v[98:99]
	v_mul_f64 v[112:113], v[140:141], s[26:27]
	v_mul_f64 v[114:115], v[142:143], s[26:27]
	v_mul_f64 v[140:141], v[116:117], s[2:3]
	v_mul_f64 v[142:143], v[118:119], s[2:3]
	v_mul_f64 v[148:149], v[152:153], s[28:29]
	v_mul_f64 v[150:151], v[154:155], s[28:29]
	v_mul_f64 v[152:153], v[108:109], s[14:15]
	v_mul_f64 v[154:155], v[110:111], s[14:15]
	v_fmac_f64_e32 v[156:157], s[24:25], v[104:105]
	v_mov_b64_e32 v[104:105], v[94:95]
	v_fmac_f64_e32 v[104:105], s[24:25], v[106:107]
	v_fma_f64 v[106:107], v[144:145], s[16:17], -v[140:141]
	v_fma_f64 v[140:141], v[146:147], s[16:17], -v[142:143]
	;; [unrolled: 1-line block ×4, first 2 shown]
	v_fmac_f64_e32 v[148:149], s[20:21], v[100:101]
	v_fma_f64 v[152:153], v[100:101], s[22:23], -v[152:153]
	v_fma_f64 v[100:101], v[102:103], s[22:23], -v[154:155]
	v_fmac_f64_e32 v[112:113], s[2:3], v[116:117]
	v_fma_f64 v[116:117], v[146:147], s[18:19], -v[114:115]
	v_fma_f64 v[146:147], v[110:111], s[14:15], -v[150:151]
	v_fmac_f64_e32 v[150:151], s[20:21], v[102:103]
	v_add_f64 v[102:103], v[106:107], v[156:157]
	v_add_f64 v[106:107], v[140:141], v[104:105]
	;; [unrolled: 1-line block ×3, first 2 shown]
	v_fmac_f64_e32 v[100:101], s[0:1], v[98:99]
	v_fmac_f64_e32 v[114:115], s[2:3], v[118:119]
	v_add_f64 v[154:155], v[112:113], v[156:157]
	v_add_f64 v[142:143], v[116:117], v[104:105]
	v_fmac_f64_e32 v[146:147], s[0:1], v[98:99]
	v_fmac_f64_e32 v[152:153], s[0:1], v[96:97]
	v_add_f64 v[112:113], v[140:141], v[100:101]
	v_add_f64 v[100:101], v[140:141], -v[100:101]
	s_waitcnt lgkmcnt(0)
	v_add_f64 v[140:141], v[132:133], v[136:137]
	v_add_f64 v[132:133], v[132:133], -v[136:137]
	v_add_f64 v[136:137], v[124:125], v[128:129]
	v_add_f64 v[158:159], v[114:115], v[104:105]
	v_fmac_f64_e32 v[144:145], s[0:1], v[96:97]
	v_add_f64 v[114:115], v[142:143], -v[152:153]
	v_add_f64 v[108:109], v[102:103], -v[146:147]
	v_add_f64 v[104:105], v[102:103], v[146:147]
	v_add_f64 v[102:103], v[152:153], v[142:143]
	;; [unrolled: 1-line block ×3, first 2 shown]
	v_add_f64 v[134:135], v[134:135], -v[138:139]
	v_add_f64 v[138:139], v[126:127], v[130:131]
	v_add_f64 v[130:131], v[126:127], -v[130:131]
	v_add_f64 v[126:127], v[60:61], v[120:121]
	;; [unrolled: 2-line block ×3, first 2 shown]
	v_add_f64 v[110:111], v[144:145], v[106:107]
	v_add_f64 v[106:107], v[106:107], -v[144:145]
	v_add_f64 v[128:129], v[124:125], -v[128:129]
	v_add_f64 v[124:125], v[62:63], v[122:123]
	v_add_f64 v[62:63], v[122:123], -v[62:63]
	v_add_f64 v[122:123], v[138:139], v[142:143]
	v_add_f64 v[144:145], v[136:137], -v[140:141]
	v_add_f64 v[140:141], v[140:141], -v[126:127]
	;; [unrolled: 1-line block ×3, first 2 shown]
	v_add_f64 v[126:127], v[126:127], v[120:121]
	v_fmac_f64_e32 v[148:149], s[0:1], v[96:97]
	v_add_f64 v[146:147], v[138:139], -v[142:143]
	v_add_f64 v[142:143], v[142:143], -v[124:125]
	;; [unrolled: 1-line block ×3, first 2 shown]
	v_add_f64 v[124:125], v[124:125], v[122:123]
	v_add_f64 v[120:121], v[0:1], v[126:127]
	v_fmac_f64_e32 v[150:151], s[0:1], v[98:99]
	v_add_f64 v[118:119], v[158:159], -v[148:149]
	v_add_f64 v[98:99], v[148:149], v[158:159]
	v_add_f64 v[148:149], v[60:61], v[128:129]
	v_add_f64 v[152:153], v[60:61], -v[128:129]
	v_add_f64 v[122:123], v[2:3], v[124:125]
	v_mov_b64_e32 v[156:157], v[120:121]
	v_add_f64 v[116:117], v[154:155], v[150:151]
	v_add_f64 v[96:97], v[154:155], -v[150:151]
	v_add_f64 v[150:151], v[62:63], v[130:131]
	v_add_f64 v[154:155], v[62:63], -v[130:131]
	v_add_f64 v[60:61], v[132:133], -v[60:61]
	v_add_f64 v[128:129], v[128:129], -v[132:133]
	v_add_f64 v[130:131], v[130:131], -v[134:135]
	v_add_f64 v[132:133], v[148:149], v[132:133]
	v_mul_f64 v[0:1], v[140:141], s[26:27]
	v_mul_f64 v[2:3], v[142:143], s[26:27]
	;; [unrolled: 1-line block ×5, first 2 shown]
	v_fmac_f64_e32 v[156:157], s[24:25], v[126:127]
	v_mov_b64_e32 v[126:127], v[122:123]
	v_add_f64 v[62:63], v[134:135], -v[62:63]
	v_add_f64 v[134:135], v[150:151], v[134:135]
	v_mul_f64 v[150:151], v[154:155], s[28:29]
	v_mul_f64 v[154:155], v[130:131], s[14:15]
	v_fmac_f64_e32 v[126:127], s[24:25], v[124:125]
	v_fma_f64 v[124:125], s[2:3], v[136:137], v[0:1]
	v_fma_f64 v[136:137], v[144:145], s[16:17], -v[140:141]
	v_fma_f64 v[140:141], v[146:147], s[16:17], -v[142:143]
	;; [unrolled: 1-line block ×3, first 2 shown]
	v_fmac_f64_e32 v[2:3], s[2:3], v[138:139]
	v_fma_f64 v[138:139], v[128:129], s[14:15], -v[148:149]
	v_fma_f64 v[146:147], v[130:131], s[14:15], -v[150:151]
	v_fmac_f64_e32 v[150:151], s[20:21], v[62:63]
	v_fma_f64 v[62:63], v[62:63], s[22:23], -v[154:155]
	v_add_f64 v[140:141], v[140:141], v[126:127]
	v_fmac_f64_e32 v[138:139], s[0:1], v[132:133]
	v_fmac_f64_e32 v[150:151], s[0:1], v[134:135]
	v_fmac_f64_e32 v[146:147], s[0:1], v[134:135]
	v_fmac_f64_e32 v[62:63], s[0:1], v[134:135]
	v_add_f64 v[134:135], v[138:139], v[140:141]
	v_add_f64 v[138:139], v[140:141], -v[138:139]
	v_mul_lo_u16_e32 v140, 7, v182
	v_lshlrev_b32_e32 v140, 4, v140
	s_waitcnt lgkmcnt(0)
	; wave barrier
	ds_write_b128 v140, v[4:7]
	ds_write_b128 v140, v[28:31] offset:16
	ds_write_b128 v140, v[24:27] offset:32
	;; [unrolled: 1-line block ×5, first 2 shown]
	v_mul_u32_u24_e32 v4, 7, v202
	v_lshlrev_b32_e32 v4, 4, v4
	scratch_store_dword off, v140, off offset:576 ; 4-byte Folded Spill
	ds_write_b128 v140, v[8:11] offset:96
	ds_write_b128 v4, v[32:35]
	ds_write_b128 v4, v[56:59] offset:16
	ds_write_b128 v4, v[52:55] offset:32
	;; [unrolled: 1-line block ×5, first 2 shown]
	scratch_store_dword off, v4, off offset:572 ; 4-byte Folded Spill
	ds_write_b128 v4, v[36:39] offset:96
	v_mul_u32_u24_e32 v4, 7, v206
	v_lshlrev_b32_e32 v4, 4, v4
	v_mul_f64 v[152:153], v[128:129], s[14:15]
	ds_write_b128 v4, v[64:67]
	ds_write_b128 v4, v[88:91] offset:16
	ds_write_b128 v4, v[84:87] offset:32
	;; [unrolled: 1-line block ×5, first 2 shown]
	v_accvgpr_write_b32 a230, v4
	ds_write_b128 v4, v[68:71] offset:96
	v_mul_u32_u24_e32 v4, 7, v162
	v_fma_f64 v[0:1], v[144:145], s[18:19], -v[0:1]
	v_fma_f64 v[144:145], s[20:21], v[60:61], v[148:149]
	v_fma_f64 v[60:61], v[60:61], s[22:23], -v[152:153]
	v_lshlrev_b32_e32 v4, 4, v4
	v_add_f64 v[148:149], v[124:125], v[156:157]
	v_add_f64 v[152:153], v[2:3], v[126:127]
	;; [unrolled: 1-line block ×5, first 2 shown]
	v_fmac_f64_e32 v[144:145], s[0:1], v[132:133]
	v_fmac_f64_e32 v[60:61], s[0:1], v[132:133]
	ds_write_b128 v4, v[92:95]
	ds_write_b128 v4, v[116:119] offset:16
	ds_write_b128 v4, v[112:115] offset:32
	;; [unrolled: 1-line block ×5, first 2 shown]
	scratch_store_dword off, v4, off offset:568 ; 4-byte Folded Spill
	ds_write_b128 v4, v[96:99] offset:96
	v_mul_u32_u24_e32 v4, 7, v160
	v_add_f64 v[128:129], v[148:149], v[150:151]
	v_add_f64 v[130:131], v[152:153], -v[144:145]
	v_add_f64 v[124:125], v[0:1], v[62:63]
	v_add_f64 v[126:127], v[142:143], -v[60:61]
	v_add_f64 v[132:133], v[2:3], -v[146:147]
	v_add_f64 v[136:137], v[2:3], v[146:147]
	v_add_f64 v[0:1], v[0:1], -v[62:63]
	v_add_f64 v[2:3], v[60:61], v[142:143]
	;; [unrolled: 2-line block ×3, first 2 shown]
	v_lshlrev_b32_e32 v4, 4, v4
	ds_write_b128 v4, v[120:123]
	ds_write_b128 v4, v[128:131] offset:16
	ds_write_b128 v4, v[124:127] offset:32
	;; [unrolled: 1-line block ×5, first 2 shown]
	scratch_store_dword off, v4, off offset:788 ; 4-byte Folded Spill
	ds_write_b128 v4, v[60:63] offset:96
	s_waitcnt lgkmcnt(0)
	; wave barrier
	s_waitcnt lgkmcnt(0)
	ds_read_b128 v[12:15], v180
	ds_read_b128 v[172:175], v180 offset:2800
	ds_read_b128 v[168:171], v180 offset:5600
	;; [unrolled: 1-line block ×32, first 2 shown]
                                        ; implicit-def: $vgpr44_vgpr45
                                        ; implicit-def: $vgpr48_vgpr49
                                        ; implicit-def: $vgpr52_vgpr53
                                        ; implicit-def: $vgpr4_vgpr5
                                        ; implicit-def: $vgpr20_vgpr21
                                        ; implicit-def: $vgpr32_vgpr33
                                        ; implicit-def: $vgpr40_vgpr41
                                        ; implicit-def: $vgpr24_vgpr25
                                        ; implicit-def: $vgpr36_vgpr37
	s_and_saveexec_b64 s[0:1], vcc
	s_cbranch_execz .LBB0_3
; %bb.2:
	ds_read_b128 v[0:3], v180 offset:2640
	ds_read_b128 v[60:63], v180 offset:5440
	;; [unrolled: 1-line block ×11, first 2 shown]
.LBB0_3:
	s_or_b64 exec, exec, s[0:1]
	v_mov_b32_e32 v184, 37
	v_mul_lo_u16_sdwa v176, v182, v184 dst_sel:DWORD dst_unused:UNUSED_PAD src0_sel:BYTE_0 src1_sel:DWORD
	v_sub_u16_sdwa v177, v182, v176 dst_sel:DWORD dst_unused:UNUSED_PAD src0_sel:DWORD src1_sel:BYTE_1
	v_lshrrev_b16_e32 v177, 1, v177
	v_and_b32_e32 v177, 0x7f, v177
	v_add_u16_sdwa v176, v177, v176 dst_sel:DWORD dst_unused:UNUSED_PAD src0_sel:DWORD src1_sel:BYTE_1
	v_lshrrev_b16_e32 v177, 2, v176
	v_mul_lo_u16_e32 v176, 7, v177
	v_sub_u16_e32 v176, v182, v176
	v_and_b32_e32 v181, 0xff, v176
	v_mul_u32_u24_e32 v176, 10, v181
	v_lshlrev_b32_e32 v179, 4, v176
	global_load_dwordx4 v[186:189], v179, s[10:11] offset:48
	global_load_dwordx4 v[190:193], v179, s[10:11] offset:32
	;; [unrolled: 1-line block ×3, first 2 shown]
	global_load_dwordx4 v[198:201], v179, s[10:11]
	v_accvgpr_write_b32 a0, v177
	v_accvgpr_write_b32 a40, v182
	;; [unrolled: 1-line block ×6, first 2 shown]
	s_mov_b32 s24, 0xf8bb580b
	s_mov_b32 s36, 0x8eee2c13
	;; [unrolled: 1-line block ×28, first 2 shown]
	s_waitcnt vmcnt(3) lgkmcnt(14)
	v_mul_f64 v[238:239], v[160:161], v[188:189]
	s_waitcnt vmcnt(2)
	v_mul_f64 v[246:247], v[164:165], v[192:193]
	s_waitcnt vmcnt(1)
	;; [unrolled: 2-line block ×3, first 2 shown]
	v_mul_f64 v[176:177], v[174:175], v[200:201]
	v_fma_f64 v[176:177], v[172:173], v[198:199], -v[176:177]
	v_mul_f64 v[182:183], v[172:173], v[200:201]
	v_mul_f64 v[172:173], v[170:171], v[196:197]
	v_fma_f64 v[220:221], v[168:169], v[194:195], -v[172:173]
	v_mul_f64 v[168:169], v[166:167], v[192:193]
	scratch_store_dwordx4 off, v[198:201], off offset:628 ; 16-byte Folded Spill
	scratch_store_dwordx4 off, v[194:197], off offset:612 ; 16-byte Folded Spill
	v_fma_f64 v[248:249], v[164:165], v[190:191], -v[168:169]
	scratch_store_dwordx4 off, v[190:193], off offset:596 ; 16-byte Folded Spill
	v_mul_f64 v[164:165], v[162:163], v[188:189]
	scratch_store_dwordx4 off, v[186:189], off offset:580 ; 16-byte Folded Spill
	v_fmac_f64_e32 v[254:255], v[170:171], v[194:195]
	v_fmac_f64_e32 v[246:247], v[166:167], v[190:191]
	v_fma_f64 v[240:241], v[160:161], v[186:187], -v[164:165]
	v_fmac_f64_e32 v[238:239], v[162:163], v[186:187]
	global_load_dwordx4 v[162:165], v179, s[10:11] offset:112
	global_load_dwordx4 v[166:169], v179, s[10:11] offset:96
	;; [unrolled: 1-line block ×4, first 2 shown]
	v_fmac_f64_e32 v[182:183], v[174:175], v[198:199]
	s_waitcnt vmcnt(3)
	scratch_store_dwordx4 off, v[162:165], off offset:644 ; 16-byte Folded Spill
	s_waitcnt vmcnt(3)
	v_mul_f64 v[242:243], v[148:149], v[168:169]
	s_waitcnt vmcnt(2)
	v_mul_f64 v[234:235], v[152:153], v[172:173]
	;; [unrolled: 2-line block ×3, first 2 shown]
	v_fma_f64 v[232:233], v[156:157], v[186:187], -v[160:161]
	v_mul_f64 v[230:231], v[156:157], v[188:189]
	v_mul_f64 v[156:157], v[154:155], v[172:173]
	v_fma_f64 v[236:237], v[152:153], v[170:171], -v[156:157]
	v_mul_f64 v[152:153], v[150:151], v[168:169]
	scratch_store_dwordx4 off, v[186:189], off offset:724 ; 16-byte Folded Spill
	scratch_store_dwordx4 off, v[170:173], off offset:708 ; 16-byte Folded Spill
	v_fma_f64 v[244:245], v[148:149], v[166:167], -v[152:153]
	scratch_store_dwordx4 off, v[166:169], off offset:676 ; 16-byte Folded Spill
	v_mul_f64 v[148:149], v[146:147], v[164:165]
	v_fmac_f64_e32 v[234:235], v[154:155], v[170:171]
	v_fmac_f64_e32 v[242:243], v[150:151], v[166:167]
	v_fma_f64 v[252:253], v[144:145], v[162:163], -v[148:149]
	global_load_dwordx4 v[148:151], v179, s[10:11] offset:144
	global_load_dwordx4 v[152:155], v179, s[10:11] offset:128
	v_mul_f64 v[250:251], v[144:145], v[164:165]
	v_fmac_f64_e32 v[250:251], v[146:147], v[162:163]
	v_fmac_f64_e32 v[230:231], v[158:159], v[186:187]
	s_waitcnt vmcnt(1)
	scratch_store_dwordx4 off, v[148:151], off offset:660 ; 16-byte Folded Spill
	s_waitcnt vmcnt(1)
	v_mul_f64 v[144:145], v[142:143], v[154:155]
	v_fma_f64 v[146:147], v[140:141], v[152:153], -v[144:145]
	v_mul_f64 v[140:141], v[140:141], v[154:155]
	v_fmac_f64_e32 v[140:141], v[142:143], v[152:153]
	v_mul_f64 v[142:143], v[138:139], v[150:151]
	scratch_store_dwordx4 off, v[152:155], off offset:692 ; 16-byte Folded Spill
	s_nop 1
	v_fma_f64 v[154:155], v[136:137], v[148:149], -v[142:143]
	v_mul_f64 v[142:143], v[136:137], v[150:151]
	v_mul_lo_u16_sdwa v136, v202, v184 dst_sel:DWORD dst_unused:UNUSED_PAD src0_sel:BYTE_0 src1_sel:DWORD
	v_sub_u16_sdwa v137, v202, v136 dst_sel:DWORD dst_unused:UNUSED_PAD src0_sel:DWORD src1_sel:BYTE_1
	v_lshrrev_b16_e32 v137, 1, v137
	v_and_b32_e32 v137, 0x7f, v137
	v_add_u16_sdwa v136, v137, v136 dst_sel:DWORD dst_unused:UNUSED_PAD src0_sel:DWORD src1_sel:BYTE_1
	v_lshrrev_b16_e32 v137, 2, v136
	v_mul_lo_u16_e32 v136, 7, v137
	v_sub_u16_e32 v136, v202, v136
	v_accvgpr_write_b32 a1, v137
	v_and_b32_e32 v137, 0xff, v136
	v_mul_u32_u24_e32 v136, 10, v137
	v_fmac_f64_e32 v[142:143], v[138:139], v[148:149]
	v_lshlrev_b32_e32 v138, 4, v136
	global_load_dwordx4 v[148:151], v138, s[10:11] offset:48
	global_load_dwordx4 v[156:159], v138, s[10:11] offset:32
	;; [unrolled: 1-line block ×3, first 2 shown]
	global_load_dwordx4 v[164:167], v138, s[10:11]
	v_accvgpr_write_b32 a85, v137
	s_waitcnt vmcnt(3)
	v_mul_f64 v[214:215], v[120:121], v[150:151]
	s_waitcnt vmcnt(2)
	v_mul_f64 v[218:219], v[124:125], v[158:159]
	;; [unrolled: 2-line block ×4, first 2 shown]
	v_fma_f64 v[226:227], v[132:133], v[164:165], -v[136:137]
	v_mul_f64 v[228:229], v[132:133], v[166:167]
	v_mul_f64 v[132:133], v[130:131], v[162:163]
	v_fma_f64 v[222:223], v[128:129], v[160:161], -v[132:133]
	v_mul_f64 v[128:129], v[126:127], v[158:159]
	scratch_store_dwordx4 off, v[164:167], off offset:740 ; 16-byte Folded Spill
	scratch_store_dwordx4 off, v[160:163], off offset:756 ; 16-byte Folded Spill
	v_fma_f64 v[216:217], v[124:125], v[156:157], -v[128:129]
	scratch_store_dwordx4 off, v[156:159], off offset:772 ; 16-byte Folded Spill
	v_mul_f64 v[124:125], v[122:123], v[150:151]
	scratch_store_dwordx4 off, v[148:151], off offset:792 ; 16-byte Folded Spill
	v_fmac_f64_e32 v[228:229], v[134:135], v[164:165]
	v_fmac_f64_e32 v[224:225], v[130:131], v[160:161]
	;; [unrolled: 1-line block ×3, first 2 shown]
	v_fma_f64 v[212:213], v[120:121], v[148:149], -v[124:125]
	v_fmac_f64_e32 v[214:215], v[122:123], v[148:149]
	global_load_dwordx4 v[122:125], v138, s[10:11] offset:112
	global_load_dwordx4 v[126:129], v138, s[10:11] offset:96
	;; [unrolled: 1-line block ×4, first 2 shown]
	s_waitcnt vmcnt(0)
	v_mul_f64 v[120:121], v[118:119], v[136:137]
	v_fma_f64 v[120:121], v[116:117], v[134:135], -v[120:121]
	v_mul_f64 v[116:117], v[116:117], v[136:137]
	v_fmac_f64_e32 v[116:117], v[118:119], v[134:135]
	v_mul_f64 v[118:119], v[114:115], v[132:133]
	v_fma_f64 v[118:119], v[112:113], v[130:131], -v[118:119]
	v_mul_f64 v[112:113], v[112:113], v[132:133]
	v_fmac_f64_e32 v[112:113], v[114:115], v[130:131]
	;; [unrolled: 4-line block ×3, first 2 shown]
	s_waitcnt lgkmcnt(13)
	v_mul_f64 v[110:111], v[106:107], v[124:125]
	scratch_store_dwordx4 off, v[134:137], off offset:808 ; 16-byte Folded Spill
	scratch_store_dwordx4 off, v[130:133], off offset:824 ; 16-byte Folded Spill
	;; [unrolled: 1-line block ×3, first 2 shown]
	v_fma_f64 v[110:111], v[104:105], v[122:123], -v[110:111]
	v_mul_f64 v[104:105], v[104:105], v[124:125]
	scratch_store_dwordx4 off, v[122:125], off offset:856 ; 16-byte Folded Spill
	v_fmac_f64_e32 v[104:105], v[106:107], v[122:123]
	global_load_dwordx4 v[122:125], v138, s[10:11] offset:144
	global_load_dwordx4 v[126:129], v138, s[10:11] offset:128
	v_mov_b32_e32 v137, 0
	s_waitcnt vmcnt(1)
	v_accvgpr_write_b32 a8, v122
	s_waitcnt vmcnt(0) lgkmcnt(12)
	v_mul_f64 v[106:107], v[102:103], v[128:129]
	v_fma_f64 v[106:107], v[100:101], v[126:127], -v[106:107]
	v_mul_f64 v[100:101], v[100:101], v[128:129]
	v_fmac_f64_e32 v[100:101], v[102:103], v[126:127]
	s_waitcnt lgkmcnt(11)
	v_mul_f64 v[102:103], v[98:99], v[124:125]
	v_fma_f64 v[102:103], v[96:97], v[122:123], -v[102:103]
	v_mul_f64 v[96:97], v[96:97], v[124:125]
	v_fmac_f64_e32 v[96:97], v[98:99], v[122:123]
	v_mul_lo_u16_sdwa v98, v206, v184 dst_sel:DWORD dst_unused:UNUSED_PAD src0_sel:BYTE_0 src1_sel:DWORD
	v_sub_u16_sdwa v99, v206, v98 dst_sel:DWORD dst_unused:UNUSED_PAD src0_sel:DWORD src1_sel:BYTE_1
	v_lshrrev_b16_e32 v99, 1, v99
	v_and_b32_e32 v99, 0x7f, v99
	v_add_u16_sdwa v98, v99, v98 dst_sel:DWORD dst_unused:UNUSED_PAD src0_sel:DWORD src1_sel:BYTE_1
	v_lshrrev_b16_e32 v99, 2, v98
	v_mul_lo_u16_e32 v98, 7, v99
	v_sub_u16_e32 v98, v206, v98
	v_and_b32_e32 v136, 0xff, v98
	v_mul_u32_u24_e32 v98, 10, v136
	scratch_store_dwordx4 off, v[126:129], off offset:872 ; 16-byte Folded Spill
	v_accvgpr_write_b32 a9, v123
	v_accvgpr_write_b32 a10, v124
	;; [unrolled: 1-line block ×3, first 2 shown]
	v_lshlrev_b32_e32 v122, 4, v98
	global_load_dwordx4 v[124:127], v122, s[10:11] offset:48
	global_load_dwordx4 v[128:131], v122, s[10:11] offset:32
	;; [unrolled: 1-line block ×3, first 2 shown]
	global_load_dwordx4 v[148:151], v122, s[10:11]
	v_accvgpr_write_b32 a90, v99
	s_waitcnt vmcnt(3)
	v_accvgpr_write_b32 a16, v124
	s_waitcnt vmcnt(2) lgkmcnt(7)
	v_mul_f64 v[190:191], v[80:81], v[130:131]
	s_waitcnt vmcnt(1)
	v_mul_f64 v[198:199], v[84:85], v[134:135]
	s_waitcnt vmcnt(0)
	v_mul_f64 v[98:99], v[94:95], v[150:151]
	v_fma_f64 v[208:209], v[92:93], v[148:149], -v[98:99]
	v_mul_f64 v[206:207], v[92:93], v[150:151]
	v_mul_f64 v[92:93], v[86:87], v[134:135]
	v_fma_f64 v[200:201], v[84:85], v[132:133], -v[92:93]
	v_accvgpr_write_b32 a24, v132
	v_mul_f64 v[84:85], v[82:83], v[130:131]
	v_accvgpr_write_b32 a25, v133
	v_accvgpr_write_b32 a26, v134
	;; [unrolled: 1-line block ×3, first 2 shown]
	v_fmac_f64_e32 v[198:199], v[86:87], v[132:133]
	v_fma_f64 v[192:193], v[80:81], v[128:129], -v[84:85]
	v_accvgpr_write_b32 a20, v128
	s_waitcnt lgkmcnt(6)
	v_mul_f64 v[80:81], v[78:79], v[126:127]
	v_mul_f64 v[132:133], v[76:77], v[126:127]
	v_fmac_f64_e32 v[206:207], v[94:95], v[148:149]
	v_accvgpr_write_b32 a21, v129
	v_accvgpr_write_b32 a22, v130
	;; [unrolled: 1-line block ×3, first 2 shown]
	v_fmac_f64_e32 v[190:191], v[82:83], v[128:129]
	v_fma_f64 v[134:135], v[76:77], v[124:125], -v[80:81]
	v_fmac_f64_e32 v[132:133], v[78:79], v[124:125]
	global_load_dwordx4 v[78:81], v122, s[10:11] offset:112
	global_load_dwordx4 v[82:85], v122, s[10:11] offset:96
	;; [unrolled: 1-line block ×4, first 2 shown]
	v_accvgpr_write_b32 a17, v125
	v_accvgpr_write_b32 a18, v126
	;; [unrolled: 1-line block ×7, first 2 shown]
	s_waitcnt vmcnt(3) lgkmcnt(2)
	v_mul_f64 v[194:195], v[56:57], v[80:81]
	s_waitcnt vmcnt(2)
	v_mul_f64 v[186:187], v[64:65], v[84:85]
	v_fmac_f64_e32 v[186:187], v[66:67], v[82:83]
	s_waitcnt vmcnt(0)
	v_mul_f64 v[76:77], v[74:75], v[130:131]
	v_fma_f64 v[126:127], v[72:73], v[128:129], -v[76:77]
	v_mul_f64 v[124:125], v[72:73], v[130:131]
	v_accvgpr_write_b32 a46, v128
	v_mul_f64 v[72:73], v[70:71], v[94:95]
	v_accvgpr_write_b32 a47, v129
	v_accvgpr_write_b32 a48, v130
	;; [unrolled: 1-line block ×3, first 2 shown]
	v_fmac_f64_e32 v[124:125], v[74:75], v[128:129]
	v_fma_f64 v[130:131], v[68:69], v[92:93], -v[72:73]
	v_mul_f64 v[128:129], v[68:69], v[94:95]
	v_mul_f64 v[68:69], v[66:67], v[84:85]
	v_fma_f64 v[188:189], v[64:65], v[82:83], -v[68:69]
	v_mul_f64 v[64:65], v[58:59], v[80:81]
	v_fmac_f64_e32 v[128:129], v[70:71], v[92:93]
	v_fma_f64 v[196:197], v[56:57], v[78:79], -v[64:65]
	global_load_dwordx4 v[64:67], v122, s[10:11] offset:144
	global_load_dwordx4 v[68:71], v122, s[10:11] offset:128
	v_fmac_f64_e32 v[194:195], v[58:59], v[78:79]
	v_accvgpr_write_b32 a32, v78
	v_accvgpr_write_b32 a36, v82
	;; [unrolled: 1-line block ×12, first 2 shown]
	s_waitcnt vmcnt(1)
	v_accvgpr_write_b32 a50, v64
	s_waitcnt vmcnt(0) lgkmcnt(1)
	v_mul_f64 v[56:57], v[30:31], v[70:71]
	v_fma_f64 v[202:203], v[28:29], v[68:69], -v[56:57]
	v_mul_f64 v[28:29], v[28:29], v[70:71]
	v_fmac_f64_e32 v[28:29], v[30:31], v[68:69]
	s_waitcnt lgkmcnt(0)
	v_mul_f64 v[30:31], v[18:19], v[66:67]
	v_fma_f64 v[210:211], v[16:17], v[64:65], -v[30:31]
	v_mul_f64 v[30:31], v[16:17], v[66:67]
	v_fmac_f64_e32 v[30:31], v[18:19], v[64:65]
	v_accvgpr_read_b32 v18, a84
	v_mul_lo_u16_sdwa v16, v18, v184 dst_sel:DWORD dst_unused:UNUSED_PAD src0_sel:BYTE_0 src1_sel:DWORD
	v_sub_u16_sdwa v17, v18, v16 dst_sel:DWORD dst_unused:UNUSED_PAD src0_sel:DWORD src1_sel:BYTE_1
	v_lshrrev_b16_e32 v17, 1, v17
	v_and_b32_e32 v17, 0x7f, v17
	v_add_u16_sdwa v16, v17, v16 dst_sel:DWORD dst_unused:UNUSED_PAD src0_sel:DWORD src1_sel:BYTE_1
	v_lshrrev_b16_e32 v16, 2, v16
	scratch_store_dword off, v16, off offset:224 ; 4-byte Folded Spill
	v_mul_lo_u16_e32 v16, 7, v16
	v_sub_u16_e32 v16, v18, v16
	v_and_b32_e32 v16, 0xff, v16
	scratch_store_dword off, v16, off offset:228 ; 4-byte Folded Spill
	v_mul_u32_u24_e32 v16, 10, v16
	v_accvgpr_write_b32 a54, v68
	v_lshlrev_b32_e32 v18, 4, v16
	v_accvgpr_write_b32 a55, v69
	v_accvgpr_write_b32 a56, v70
	;; [unrolled: 1-line block ×6, first 2 shown]
	global_load_dwordx4 v[72:75], v18, s[10:11] offset:48
	global_load_dwordx4 v[68:71], v18, s[10:11] offset:32
	;; [unrolled: 1-line block ×3, first 2 shown]
	global_load_dwordx4 v[64:67], v18, s[10:11]
	s_waitcnt vmcnt(3)
	v_mul_f64 v[152:153], v[52:53], v[74:75]
	s_waitcnt vmcnt(2)
	v_mul_f64 v[150:151], v[48:49], v[70:71]
	;; [unrolled: 2-line block ×4, first 2 shown]
	v_fma_f64 v[156:157], v[60:61], v[64:65], -v[16:17]
	v_mul_f64 v[16:17], v[46:47], v[58:59]
	v_fma_f64 v[162:163], v[44:45], v[56:57], -v[16:17]
	v_mul_f64 v[16:17], v[50:51], v[70:71]
	scratch_store_dwordx4 off, v[64:67], off offset:888 ; 16-byte Folded Spill
	scratch_store_dwordx4 off, v[56:59], off offset:904 ; 16-byte Folded Spill
	v_fma_f64 v[170:171], v[48:49], v[68:69], -v[16:17]
	scratch_store_dwordx4 off, v[68:71], off offset:920 ; 16-byte Folded Spill
	v_mul_f64 v[16:17], v[54:55], v[74:75]
	scratch_store_dwordx4 off, v[72:75], off offset:936 ; 16-byte Folded Spill
	v_fmac_f64_e32 v[148:149], v[46:47], v[56:57]
	v_fmac_f64_e32 v[150:151], v[50:51], v[68:69]
	v_fma_f64 v[204:205], v[52:53], v[72:73], -v[16:17]
	v_fmac_f64_e32 v[152:153], v[54:55], v[72:73]
	global_load_dwordx4 v[44:47], v18, s[10:11] offset:112
	global_load_dwordx4 v[48:51], v18, s[10:11] offset:96
	;; [unrolled: 1-line block ×4, first 2 shown]
	v_mul_f64 v[144:145], v[60:61], v[66:67]
	v_fmac_f64_e32 v[144:145], v[62:63], v[64:65]
	v_add_f64 v[74:75], v[238:239], v[242:243]
	v_accvgpr_write_b32 a2, v156
	v_accvgpr_write_b32 a3, v157
	;; [unrolled: 1-line block ×8, first 2 shown]
	s_waitcnt vmcnt(3)
	scratch_store_dwordx4 off, v[44:47], off offset:952 ; 16-byte Folded Spill
	s_waitcnt vmcnt(3)
	scratch_store_dwordx4 off, v[48:51], off offset:984 ; 16-byte Folded Spill
	s_waitcnt vmcnt(3)
	v_mul_f64 v[164:165], v[20:21], v[54:55]
	s_waitcnt vmcnt(2)
	v_mul_f64 v[16:17], v[6:7], v[58:59]
	v_fma_f64 v[16:17], v[4:5], v[56:57], -v[16:17]
	v_accvgpr_write_b32 a61, v17
	v_mul_f64 v[160:161], v[4:5], v[58:59]
	scratch_store_dwordx4 off, v[56:59], off offset:1000 ; 16-byte Folded Spill
	v_mul_f64 v[4:5], v[22:23], v[54:55]
	scratch_store_dwordx4 off, v[52:55], off offset:1032 ; 16-byte Folded Spill
	v_accvgpr_write_b32 a60, v16
	v_fma_f64 v[4:5], v[20:21], v[52:53], -v[4:5]
	v_fmac_f64_e32 v[164:165], v[22:23], v[52:53]
	global_load_dwordx4 v[20:23], v18, s[10:11] offset:144
	s_nop 0
	global_load_dwordx4 v[16:19], v18, s[10:11] offset:128
	v_accvgpr_write_b32 a59, v5
	v_accvgpr_write_b32 a58, v4
	v_mul_f64 v[4:5], v[34:35], v[50:51]
	v_fma_f64 v[178:179], v[32:33], v[48:49], -v[4:5]
	v_mul_f64 v[4:5], v[42:43], v[46:47]
	v_fma_f64 v[172:173], v[40:41], v[44:45], -v[4:5]
	v_mul_f64 v[168:169], v[40:41], v[46:47]
	v_mul_f64 v[166:167], v[32:33], v[50:51]
	v_fmac_f64_e32 v[168:169], v[42:43], v[44:45]
	v_fmac_f64_e32 v[160:161], v[6:7], v[56:57]
	;; [unrolled: 1-line block ×3, first 2 shown]
	v_add_f64 v[6:7], v[14:15], v[182:183]
	v_add_f64 v[6:7], v[6:7], v[254:255]
	;; [unrolled: 1-line block ×10, first 2 shown]
	v_accvgpr_write_b32 a82, v172
	v_accvgpr_write_b32 a83, v173
	;; [unrolled: 1-line block ×4, first 2 shown]
	s_waitcnt vmcnt(1)
	v_mul_f64 v[184:185], v[36:37], v[22:23]
	s_waitcnt vmcnt(0)
	v_mul_f64 v[4:5], v[26:27], v[18:19]
	v_fma_f64 v[158:159], v[24:25], v[16:17], -v[4:5]
	v_mul_f64 v[174:175], v[24:25], v[18:19]
	v_mul_f64 v[4:5], v[38:39], v[22:23]
	scratch_store_dwordx4 off, v[20:23], off offset:968 ; 16-byte Folded Spill
	scratch_store_dwordx4 off, v[16:19], off offset:1016 ; 16-byte Folded Spill
	v_fmac_f64_e32 v[174:175], v[26:27], v[16:17]
	v_add_f64 v[22:23], v[182:183], -v[142:143]
	v_fma_f64 v[138:139], v[36:37], v[20:21], -v[4:5]
	v_fmac_f64_e32 v[184:185], v[38:39], v[20:21]
	v_add_f64 v[16:17], v[176:177], v[154:155]
	v_add_f64 v[20:21], v[176:177], -v[154:155]
	v_mul_f64 v[24:25], v[22:23], s[24:25]
	v_mul_f64 v[36:37], v[22:23], s[36:37]
	v_mul_f64 v[44:45], v[22:23], s[20:21]
	v_mul_f64 v[52:53], v[22:23], s[22:23]
	v_mul_f64 v[22:23], v[22:23], s[26:27]
	v_add_f64 v[18:19], v[182:183], v[142:143]
	v_fma_f64 v[26:27], v[16:17], s[0:1], -v[24:25]
	v_mul_f64 v[32:33], v[20:21], s[24:25]
	v_fmac_f64_e32 v[24:25], s[0:1], v[16:17]
	v_fma_f64 v[38:39], v[16:17], s[2:3], -v[36:37]
	v_mul_f64 v[40:41], v[20:21], s[36:37]
	v_fmac_f64_e32 v[36:37], s[2:3], v[16:17]
	;; [unrolled: 3-line block ×5, first 2 shown]
	v_add_f64 v[4:5], v[12:13], v[176:177]
	v_add_f64 v[26:27], v[12:13], v[26:27]
	v_fma_f64 v[34:35], s[0:1], v[18:19], v[32:33]
	v_add_f64 v[24:25], v[12:13], v[24:25]
	v_fma_f64 v[32:33], v[18:19], s[0:1], -v[32:33]
	v_add_f64 v[38:39], v[12:13], v[38:39]
	v_fma_f64 v[42:43], s[2:3], v[18:19], v[40:41]
	v_add_f64 v[36:37], v[12:13], v[36:37]
	v_fma_f64 v[40:41], v[18:19], s[2:3], -v[40:41]
	;; [unrolled: 4-line block ×5, first 2 shown]
	v_add_f64 v[22:23], v[254:255], -v[140:141]
	v_add_f64 v[34:35], v[14:15], v[34:35]
	v_add_f64 v[32:33], v[14:15], v[32:33]
	;; [unrolled: 1-line block ×11, first 2 shown]
	v_mul_f64 v[64:65], v[22:23], s[36:37]
	v_add_f64 v[20:21], v[220:221], -v[146:147]
	v_fma_f64 v[66:67], v[16:17], s[2:3], -v[64:65]
	v_add_f64 v[18:19], v[254:255], v[140:141]
	v_add_f64 v[26:27], v[66:67], v[26:27]
	v_mul_f64 v[66:67], v[20:21], s[36:37]
	v_fmac_f64_e32 v[64:65], s[2:3], v[16:17]
	v_add_f64 v[24:25], v[64:65], v[24:25]
	v_fma_f64 v[64:65], v[18:19], s[2:3], -v[66:67]
	v_add_f64 v[32:33], v[64:65], v[32:33]
	v_mul_f64 v[64:65], v[22:23], s[22:23]
	v_fma_f64 v[68:69], s[2:3], v[18:19], v[66:67]
	v_fma_f64 v[66:67], v[16:17], s[16:17], -v[64:65]
	v_add_f64 v[38:39], v[66:67], v[38:39]
	v_mul_f64 v[66:67], v[20:21], s[22:23]
	v_fmac_f64_e32 v[64:65], s[16:17], v[16:17]
	v_add_f64 v[36:37], v[64:65], v[36:37]
	v_fma_f64 v[64:65], v[18:19], s[16:17], -v[66:67]
	v_add_f64 v[40:41], v[64:65], v[40:41]
	v_mul_f64 v[64:65], v[22:23], s[38:39]
	v_add_f64 v[34:35], v[68:69], v[34:35]
	v_fma_f64 v[68:69], s[16:17], v[18:19], v[66:67]
	v_fma_f64 v[66:67], v[16:17], s[18:19], -v[64:65]
	v_add_f64 v[46:47], v[66:67], v[46:47]
	v_mul_f64 v[66:67], v[20:21], s[38:39]
	v_fmac_f64_e32 v[64:65], s[18:19], v[16:17]
	v_add_f64 v[44:45], v[64:65], v[44:45]
	v_fma_f64 v[64:65], v[18:19], s[18:19], -v[66:67]
	v_add_f64 v[48:49], v[64:65], v[48:49]
	v_mul_f64 v[64:65], v[22:23], s[34:35]
	v_add_f64 v[42:43], v[68:69], v[42:43]
	v_fma_f64 v[68:69], s[18:19], v[18:19], v[66:67]
	v_fma_f64 v[66:67], v[16:17], s[14:15], -v[64:65]
	v_add_f64 v[54:55], v[66:67], v[54:55]
	v_mul_f64 v[66:67], v[20:21], s[34:35]
	v_fmac_f64_e32 v[64:65], s[14:15], v[16:17]
	v_add_f64 v[52:53], v[64:65], v[52:53]
	v_fma_f64 v[64:65], v[18:19], s[14:15], -v[66:67]
	v_mul_f64 v[22:23], v[22:23], s[30:31]
	v_add_f64 v[56:57], v[64:65], v[56:57]
	v_fma_f64 v[64:65], v[16:17], s[0:1], -v[22:23]
	v_mul_f64 v[20:21], v[20:21], s[30:31]
	v_fmac_f64_e32 v[22:23], s[0:1], v[16:17]
	v_add_f64 v[60:61], v[64:65], v[60:61]
	v_fma_f64 v[64:65], s[0:1], v[18:19], v[20:21]
	v_add_f64 v[12:13], v[22:23], v[12:13]
	v_fma_f64 v[16:17], v[18:19], s[0:1], -v[20:21]
	v_add_f64 v[22:23], v[246:247], -v[250:251]
	v_add_f64 v[62:63], v[64:65], v[62:63]
	v_add_f64 v[14:15], v[16:17], v[14:15]
	;; [unrolled: 1-line block ×3, first 2 shown]
	v_mul_f64 v[64:65], v[22:23], s[20:21]
	v_add_f64 v[50:51], v[68:69], v[50:51]
	v_fma_f64 v[68:69], s[14:15], v[18:19], v[66:67]
	v_add_f64 v[20:21], v[248:249], -v[252:253]
	v_fma_f64 v[66:67], v[16:17], s[14:15], -v[64:65]
	v_add_f64 v[18:19], v[246:247], v[250:251]
	v_add_f64 v[26:27], v[66:67], v[26:27]
	v_mul_f64 v[66:67], v[20:21], s[20:21]
	v_fmac_f64_e32 v[64:65], s[14:15], v[16:17]
	v_add_f64 v[24:25], v[64:65], v[24:25]
	v_fma_f64 v[64:65], v[18:19], s[14:15], -v[66:67]
	v_add_f64 v[32:33], v[64:65], v[32:33]
	v_mul_f64 v[64:65], v[22:23], s[38:39]
	v_add_f64 v[58:59], v[68:69], v[58:59]
	v_fma_f64 v[68:69], s[14:15], v[18:19], v[66:67]
	v_fma_f64 v[66:67], v[16:17], s[18:19], -v[64:65]
	v_add_f64 v[38:39], v[66:67], v[38:39]
	v_mul_f64 v[66:67], v[20:21], s[38:39]
	v_fmac_f64_e32 v[64:65], s[18:19], v[16:17]
	v_add_f64 v[36:37], v[64:65], v[36:37]
	v_fma_f64 v[64:65], v[18:19], s[18:19], -v[66:67]
	v_add_f64 v[40:41], v[64:65], v[40:41]
	v_mul_f64 v[64:65], v[22:23], s[28:29]
	v_add_f64 v[34:35], v[68:69], v[34:35]
	v_fma_f64 v[68:69], s[18:19], v[18:19], v[66:67]
	v_fma_f64 v[66:67], v[16:17], s[2:3], -v[64:65]
	;; [unrolled: 10-line block ×3, first 2 shown]
	v_add_f64 v[66:67], v[66:67], v[54:55]
	v_mul_f64 v[54:55], v[20:21], s[24:25]
	v_fmac_f64_e32 v[64:65], s[0:1], v[16:17]
	v_add_f64 v[64:65], v[64:65], v[52:53]
	v_fma_f64 v[52:53], v[18:19], s[0:1], -v[54:55]
	v_mul_f64 v[22:23], v[22:23], s[22:23]
	v_add_f64 v[50:51], v[68:69], v[50:51]
	v_fma_f64 v[68:69], s[0:1], v[18:19], v[54:55]
	v_add_f64 v[56:57], v[52:53], v[56:57]
	v_fma_f64 v[52:53], v[16:17], s[16:17], -v[22:23]
	v_mul_f64 v[20:21], v[20:21], s[22:23]
	v_add_f64 v[58:59], v[68:69], v[58:59]
	v_add_f64 v[68:69], v[52:53], v[60:61]
	v_fma_f64 v[52:53], s[16:17], v[18:19], v[20:21]
	v_fmac_f64_e32 v[22:23], s[16:17], v[16:17]
	v_fma_f64 v[16:17], v[18:19], s[16:17], -v[20:21]
	v_add_f64 v[18:19], v[238:239], -v[242:243]
	v_add_f64 v[72:73], v[16:17], v[14:15]
	v_add_f64 v[14:15], v[240:241], v[244:245]
	v_mul_f64 v[20:21], v[18:19], s[22:23]
	v_add_f64 v[12:13], v[22:23], v[12:13]
	v_add_f64 v[16:17], v[240:241], -v[244:245]
	v_fma_f64 v[22:23], v[14:15], s[16:17], -v[20:21]
	v_add_f64 v[76:77], v[22:23], v[26:27]
	v_mul_f64 v[22:23], v[16:17], s[22:23]
	v_fmac_f64_e32 v[20:21], s[16:17], v[14:15]
	v_add_f64 v[80:81], v[20:21], v[24:25]
	v_fma_f64 v[20:21], v[74:75], s[16:17], -v[22:23]
	v_add_f64 v[82:83], v[20:21], v[32:33]
	v_mul_f64 v[20:21], v[18:19], s[34:35]
	v_fma_f64 v[26:27], s[16:17], v[74:75], v[22:23]
	v_fma_f64 v[22:23], v[14:15], s[14:15], -v[20:21]
	v_add_f64 v[84:85], v[22:23], v[38:39]
	v_mul_f64 v[22:23], v[16:17], s[34:35]
	v_fmac_f64_e32 v[20:21], s[14:15], v[14:15]
	v_add_f64 v[70:71], v[52:53], v[62:63]
	v_add_f64 v[52:53], v[20:21], v[36:37]
	v_fma_f64 v[20:21], v[74:75], s[14:15], -v[22:23]
	v_add_f64 v[54:55], v[20:21], v[40:41]
	v_mul_f64 v[20:21], v[18:19], s[24:25]
	v_fma_f64 v[24:25], s[14:15], v[74:75], v[22:23]
	v_fma_f64 v[22:23], v[14:15], s[0:1], -v[20:21]
	v_add_f64 v[60:61], v[22:23], v[46:47]
	v_mul_f64 v[22:23], v[16:17], s[24:25]
	v_fmac_f64_e32 v[20:21], s[0:1], v[14:15]
	v_add_f64 v[40:41], v[20:21], v[44:45]
	v_fma_f64 v[20:21], v[74:75], s[0:1], -v[22:23]
	v_add_f64 v[86:87], v[24:25], v[42:43]
	v_fma_f64 v[24:25], s[0:1], v[74:75], v[22:23]
	v_add_f64 v[38:39], v[20:21], v[48:49]
	v_mul_f64 v[20:21], v[18:19], s[26:27]
	v_add_f64 v[62:63], v[24:25], v[50:51]
	v_fma_f64 v[22:23], v[14:15], s[18:19], -v[20:21]
	v_mul_f64 v[24:25], v[16:17], s[26:27]
	v_add_f64 v[78:79], v[26:27], v[34:35]
	v_add_f64 v[34:35], v[22:23], v[66:67]
	v_fma_f64 v[22:23], s[18:19], v[74:75], v[24:25]
	v_fmac_f64_e32 v[20:21], s[18:19], v[14:15]
	v_add_f64 v[26:27], v[22:23], v[58:59]
	v_add_f64 v[22:23], v[20:21], v[64:65]
	v_fma_f64 v[20:21], v[74:75], s[18:19], -v[24:25]
	v_mul_f64 v[24:25], v[18:19], s[28:29]
	v_fma_f64 v[18:19], v[14:15], s[2:3], -v[24:25]
	v_mul_f64 v[32:33], v[16:17], s[28:29]
	v_fmac_f64_e32 v[24:25], s[2:3], v[14:15]
	v_add_f64 v[42:43], v[230:231], -v[234:235]
	v_fma_f64 v[16:17], s[2:3], v[74:75], v[32:33]
	v_add_f64 v[14:15], v[24:25], v[12:13]
	v_fma_f64 v[12:13], v[74:75], s[2:3], -v[32:33]
	v_add_f64 v[32:33], v[232:233], v[236:237]
	v_add_f64 v[36:37], v[232:233], -v[236:237]
	v_mul_f64 v[64:65], v[42:43], s[30:31]
	v_add_f64 v[20:21], v[20:21], v[56:57]
	v_add_f64 v[24:25], v[230:231], v[234:235]
	v_fma_f64 v[56:57], v[32:33], s[0:1], -v[64:65]
	v_mul_f64 v[66:67], v[36:37], s[30:31]
	v_fmac_f64_e32 v[64:65], s[0:1], v[32:33]
	v_add_f64 v[52:53], v[64:65], v[52:53]
	v_fma_f64 v[64:65], v[24:25], s[0:1], -v[66:67]
	v_add_f64 v[54:55], v[64:65], v[54:55]
	v_mul_f64 v[64:65], v[42:43], s[22:23]
	v_fma_f64 v[58:59], s[0:1], v[24:25], v[66:67]
	v_fma_f64 v[66:67], v[32:33], s[16:17], -v[64:65]
	v_add_f64 v[60:61], v[66:67], v[60:61]
	v_mul_f64 v[66:67], v[36:37], s[22:23]
	v_fmac_f64_e32 v[64:65], s[16:17], v[32:33]
	v_add_f64 v[64:65], v[64:65], v[40:41]
	v_fma_f64 v[40:41], v[24:25], s[16:17], -v[66:67]
	v_add_f64 v[18:19], v[18:19], v[68:69]
	v_fma_f64 v[68:69], s[16:17], v[24:25], v[66:67]
	v_add_f64 v[66:67], v[40:41], v[38:39]
	v_mul_f64 v[38:39], v[42:43], s[28:29]
	v_fma_f64 v[40:41], v[32:33], s[2:3], -v[38:39]
	v_add_f64 v[62:63], v[68:69], v[62:63]
	v_add_f64 v[68:69], v[40:41], v[34:35]
	v_mul_f64 v[34:35], v[36:37], s[28:29]
	v_fmac_f64_e32 v[38:39], s[2:3], v[32:33]
	v_add_f64 v[12:13], v[12:13], v[72:73]
	v_add_f64 v[72:73], v[38:39], v[22:23]
	v_fma_f64 v[22:23], v[24:25], s[2:3], -v[34:35]
	v_mul_f64 v[44:45], v[42:43], s[26:27]
	v_add_f64 v[74:75], v[22:23], v[20:21]
	v_mul_f64 v[20:21], v[42:43], s[20:21]
	v_fma_f64 v[46:47], v[32:33], s[18:19], -v[44:45]
	v_fma_f64 v[22:23], v[32:33], s[14:15], -v[20:21]
	v_add_f64 v[48:49], v[46:47], v[76:77]
	v_mul_f64 v[46:47], v[36:37], s[26:27]
	v_fmac_f64_e32 v[44:45], s[18:19], v[32:33]
	v_add_f64 v[76:77], v[22:23], v[18:19]
	v_mul_f64 v[18:19], v[36:37], s[20:21]
	v_fmac_f64_e32 v[20:21], s[14:15], v[32:33]
	v_fma_f64 v[50:51], s[18:19], v[24:25], v[46:47]
	v_add_f64 v[44:45], v[44:45], v[80:81]
	v_fma_f64 v[46:47], v[24:25], s[18:19], -v[46:47]
	v_add_f64 v[80:81], v[20:21], v[14:15]
	v_fma_f64 v[14:15], v[24:25], s[14:15], -v[18:19]
	v_add_f64 v[46:47], v[46:47], v[82:83]
	v_add_f64 v[82:83], v[14:15], v[12:13]
	;; [unrolled: 1-line block ×17, first 2 shown]
	v_fma_f64 v[22:23], s[14:15], v[24:25], v[18:19]
	v_add_f64 v[12:13], v[12:13], v[110:111]
	v_add_f64 v[14:15], v[14:15], v[104:105]
	;; [unrolled: 1-line block ×6, first 2 shown]
	v_add_f64 v[16:17], v[226:227], -v[102:103]
	v_add_f64 v[56:57], v[56:57], v[84:85]
	v_add_f64 v[58:59], v[58:59], v[86:87]
	v_fma_f64 v[40:41], s[2:3], v[24:25], v[34:35]
	v_add_f64 v[84:85], v[12:13], v[102:103]
	v_add_f64 v[86:87], v[14:15], v[96:97]
	;; [unrolled: 1-line block ×4, first 2 shown]
	v_add_f64 v[18:19], v[228:229], -v[96:97]
	v_mul_f64 v[24:25], v[16:17], s[24:25]
	v_mul_f64 v[36:37], v[16:17], s[36:37]
	;; [unrolled: 1-line block ×5, first 2 shown]
	v_add_f64 v[4:5], v[4:5], v[220:221]
	v_add_f64 v[70:71], v[40:41], v[26:27]
	v_mul_f64 v[20:21], v[18:19], s[24:25]
	v_fma_f64 v[26:27], s[0:1], v[14:15], v[24:25]
	v_fma_f64 v[24:25], v[14:15], s[0:1], -v[24:25]
	v_mul_f64 v[32:33], v[18:19], s[36:37]
	v_fma_f64 v[38:39], s[2:3], v[14:15], v[36:37]
	v_fma_f64 v[36:37], v[14:15], s[2:3], -v[36:37]
	;; [unrolled: 3-line block ×5, first 2 shown]
	v_add_f64 v[4:5], v[4:5], v[248:249]
	v_add_f64 v[26:27], v[90:91], v[26:27]
	v_add_f64 v[24:25], v[90:91], v[24:25]
	v_add_f64 v[38:39], v[90:91], v[38:39]
	v_add_f64 v[36:37], v[90:91], v[36:37]
	v_add_f64 v[94:95], v[90:91], v[94:95]
	v_add_f64 v[92:93], v[90:91], v[92:93]
	v_add_f64 v[122:123], v[90:91], v[122:123]
	v_add_f64 v[102:103], v[90:91], v[102:103]
	v_fma_f64 v[140:141], v[12:13], s[18:19], -v[18:19]
	v_add_f64 v[142:143], v[90:91], v[142:143]
	v_fmac_f64_e32 v[18:19], s[18:19], v[12:13]
	v_add_f64 v[14:15], v[90:91], v[14:15]
	v_add_f64 v[90:91], v[224:225], -v[100:101]
	v_add_f64 v[4:5], v[4:5], v[240:241]
	v_fma_f64 v[22:23], v[12:13], s[0:1], -v[20:21]
	v_fmac_f64_e32 v[20:21], s[0:1], v[12:13]
	v_fma_f64 v[34:35], v[12:13], s[2:3], -v[32:33]
	v_fmac_f64_e32 v[32:33], s[2:3], v[12:13]
	;; [unrolled: 2-line block ×4, first 2 shown]
	v_add_f64 v[12:13], v[88:89], v[18:19]
	v_add_f64 v[16:17], v[222:223], v[106:107]
	;; [unrolled: 1-line block ×3, first 2 shown]
	v_mul_f64 v[100:101], v[90:91], s[36:37]
	v_add_f64 v[4:5], v[4:5], v[232:233]
	v_add_f64 v[22:23], v[88:89], v[22:23]
	;; [unrolled: 1-line block ×10, first 2 shown]
	v_add_f64 v[88:89], v[222:223], -v[106:107]
	v_fma_f64 v[106:107], v[16:17], s[2:3], -v[100:101]
	v_add_f64 v[4:5], v[4:5], v[236:237]
	v_add_f64 v[22:23], v[106:107], v[22:23]
	v_mul_f64 v[106:107], v[88:89], s[36:37]
	v_fmac_f64_e32 v[100:101], s[2:3], v[16:17]
	v_add_f64 v[4:5], v[4:5], v[244:245]
	v_add_f64 v[20:21], v[100:101], v[20:21]
	v_fma_f64 v[100:101], v[18:19], s[2:3], -v[106:107]
	v_add_f64 v[4:5], v[4:5], v[252:253]
	v_add_f64 v[24:25], v[100:101], v[24:25]
	v_mul_f64 v[100:101], v[90:91], s[22:23]
	v_add_f64 v[4:5], v[4:5], v[146:147]
	v_fma_f64 v[146:147], s[2:3], v[18:19], v[106:107]
	v_fma_f64 v[106:107], v[16:17], s[16:17], -v[100:101]
	v_add_f64 v[34:35], v[106:107], v[34:35]
	v_mul_f64 v[106:107], v[88:89], s[22:23]
	v_fmac_f64_e32 v[100:101], s[16:17], v[16:17]
	v_add_f64 v[32:33], v[100:101], v[32:33]
	v_fma_f64 v[100:101], v[18:19], s[16:17], -v[106:107]
	v_add_f64 v[36:37], v[100:101], v[36:37]
	v_mul_f64 v[100:101], v[90:91], s[38:39]
	v_add_f64 v[26:27], v[146:147], v[26:27]
	v_fma_f64 v[146:147], s[16:17], v[18:19], v[106:107]
	v_fma_f64 v[106:107], v[16:17], s[18:19], -v[100:101]
	v_add_f64 v[42:43], v[106:107], v[42:43]
	v_mul_f64 v[106:107], v[88:89], s[38:39]
	v_fmac_f64_e32 v[100:101], s[18:19], v[16:17]
	v_add_f64 v[40:41], v[100:101], v[40:41]
	v_fma_f64 v[100:101], v[18:19], s[18:19], -v[106:107]
	;; [unrolled: 10-line block ×3, first 2 shown]
	v_mul_f64 v[90:91], v[90:91], s[30:31]
	v_add_f64 v[100:101], v[100:101], v[102:103]
	v_fma_f64 v[102:103], v[16:17], s[0:1], -v[90:91]
	v_mul_f64 v[88:89], v[88:89], s[30:31]
	v_fmac_f64_e32 v[90:91], s[0:1], v[16:17]
	v_add_f64 v[12:13], v[90:91], v[12:13]
	v_fma_f64 v[16:17], v[18:19], s[0:1], -v[88:89]
	v_add_f64 v[90:91], v[218:219], -v[104:105]
	v_add_f64 v[94:95], v[146:147], v[94:95]
	v_fma_f64 v[146:147], s[14:15], v[18:19], v[106:107]
	v_fma_f64 v[106:107], s[0:1], v[18:19], v[88:89]
	v_add_f64 v[14:15], v[16:17], v[14:15]
	v_add_f64 v[16:17], v[216:217], v[110:111]
	;; [unrolled: 1-line block ×3, first 2 shown]
	v_mul_f64 v[104:105], v[90:91], s[20:21]
	v_add_f64 v[88:89], v[216:217], -v[110:111]
	v_fma_f64 v[110:111], v[16:17], s[14:15], -v[104:105]
	v_add_f64 v[22:23], v[110:111], v[22:23]
	v_mul_f64 v[110:111], v[88:89], s[20:21]
	v_fmac_f64_e32 v[104:105], s[14:15], v[16:17]
	v_add_f64 v[20:21], v[104:105], v[20:21]
	v_fma_f64 v[104:105], v[18:19], s[14:15], -v[110:111]
	v_add_f64 v[24:25], v[104:105], v[24:25]
	v_mul_f64 v[104:105], v[90:91], s[38:39]
	v_add_f64 v[102:103], v[102:103], v[140:141]
	v_fma_f64 v[140:141], s[14:15], v[18:19], v[110:111]
	v_fma_f64 v[110:111], v[16:17], s[18:19], -v[104:105]
	v_add_f64 v[34:35], v[110:111], v[34:35]
	v_mul_f64 v[110:111], v[88:89], s[38:39]
	v_fmac_f64_e32 v[104:105], s[18:19], v[16:17]
	v_add_f64 v[32:33], v[104:105], v[32:33]
	v_fma_f64 v[104:105], v[18:19], s[18:19], -v[110:111]
	v_add_f64 v[36:37], v[104:105], v[36:37]
	v_mul_f64 v[104:105], v[90:91], s[28:29]
	v_add_f64 v[26:27], v[140:141], v[26:27]
	v_fma_f64 v[140:141], s[18:19], v[18:19], v[110:111]
	v_fma_f64 v[110:111], v[16:17], s[2:3], -v[104:105]
	v_add_f64 v[42:43], v[110:111], v[42:43]
	v_mul_f64 v[110:111], v[88:89], s[28:29]
	v_fmac_f64_e32 v[104:105], s[2:3], v[16:17]
	v_add_f64 v[40:41], v[104:105], v[40:41]
	v_fma_f64 v[104:105], v[18:19], s[2:3], -v[110:111]
	v_add_f64 v[92:93], v[104:105], v[92:93]
	v_mul_f64 v[104:105], v[90:91], s[24:25]
	v_add_f64 v[38:39], v[140:141], v[38:39]
	v_fma_f64 v[140:141], s[2:3], v[18:19], v[110:111]
	v_fma_f64 v[110:111], v[16:17], s[0:1], -v[104:105]
	v_add_f64 v[98:99], v[110:111], v[98:99]
	v_mul_f64 v[110:111], v[88:89], s[24:25]
	v_fmac_f64_e32 v[104:105], s[0:1], v[16:17]
	v_add_f64 v[96:97], v[104:105], v[96:97]
	v_fma_f64 v[104:105], v[18:19], s[0:1], -v[110:111]
	v_mul_f64 v[90:91], v[90:91], s[22:23]
	v_add_f64 v[122:123], v[146:147], v[122:123]
	v_add_f64 v[94:95], v[140:141], v[94:95]
	v_fma_f64 v[140:141], s[0:1], v[18:19], v[110:111]
	v_add_f64 v[110:111], v[104:105], v[100:101]
	v_fma_f64 v[100:101], v[16:17], s[16:17], -v[90:91]
	v_mul_f64 v[88:89], v[88:89], s[22:23]
	v_fmac_f64_e32 v[90:91], s[16:17], v[16:17]
	v_add_f64 v[106:107], v[106:107], v[142:143]
	v_add_f64 v[122:123], v[140:141], v[122:123]
	;; [unrolled: 1-line block ×3, first 2 shown]
	v_fma_f64 v[100:101], s[16:17], v[18:19], v[88:89]
	v_add_f64 v[12:13], v[90:91], v[12:13]
	v_fma_f64 v[16:17], v[18:19], s[16:17], -v[88:89]
	v_add_f64 v[90:91], v[214:215], -v[108:109]
	v_add_f64 v[106:107], v[100:101], v[106:107]
	v_add_f64 v[14:15], v[16:17], v[14:15]
	;; [unrolled: 1-line block ×3, first 2 shown]
	v_mul_f64 v[100:101], v[90:91], s[22:23]
	v_add_f64 v[88:89], v[212:213], -v[114:115]
	v_fma_f64 v[102:103], v[16:17], s[16:17], -v[100:101]
	v_add_f64 v[18:19], v[214:215], v[108:109]
	v_add_f64 v[108:109], v[102:103], v[22:23]
	v_mul_f64 v[22:23], v[88:89], s[22:23]
	v_fmac_f64_e32 v[100:101], s[16:17], v[16:17]
	v_add_f64 v[142:143], v[100:101], v[20:21]
	v_fma_f64 v[20:21], v[18:19], s[16:17], -v[22:23]
	v_add_f64 v[146:147], v[20:21], v[24:25]
	v_mul_f64 v[20:21], v[90:91], s[34:35]
	v_fma_f64 v[102:103], s[16:17], v[18:19], v[22:23]
	v_fma_f64 v[22:23], v[16:17], s[14:15], -v[20:21]
	v_add_f64 v[4:5], v[4:5], v[154:155]
	v_add_f64 v[154:155], v[22:23], v[34:35]
	v_mul_f64 v[22:23], v[88:89], s[34:35]
	v_fmac_f64_e32 v[20:21], s[14:15], v[16:17]
	v_add_f64 v[182:183], v[20:21], v[32:33]
	v_fma_f64 v[20:21], v[18:19], s[14:15], -v[22:23]
	v_add_f64 v[212:213], v[20:21], v[36:37]
	v_mul_f64 v[20:21], v[90:91], s[24:25]
	v_fma_f64 v[24:25], s[14:15], v[18:19], v[22:23]
	v_fma_f64 v[22:23], v[16:17], s[0:1], -v[20:21]
	v_add_f64 v[100:101], v[22:23], v[42:43]
	v_mul_f64 v[22:23], v[88:89], s[24:25]
	v_fmac_f64_e32 v[20:21], s[0:1], v[16:17]
	v_add_f64 v[104:105], v[20:21], v[40:41]
	v_fma_f64 v[20:21], v[18:19], s[0:1], -v[22:23]
	v_add_f64 v[42:43], v[20:21], v[92:93]
	v_mul_f64 v[20:21], v[90:91], s[26:27]
	v_add_f64 v[176:177], v[24:25], v[38:39]
	v_fma_f64 v[24:25], s[0:1], v[18:19], v[22:23]
	v_fma_f64 v[22:23], v[16:17], s[18:19], -v[20:21]
	v_add_f64 v[38:39], v[22:23], v[98:99]
	v_mul_f64 v[22:23], v[88:89], s[26:27]
	v_fmac_f64_e32 v[20:21], s[18:19], v[16:17]
	v_add_f64 v[114:115], v[102:103], v[26:27]
	v_add_f64 v[102:103], v[24:25], v[94:95]
	v_fma_f64 v[24:25], s[18:19], v[18:19], v[22:23]
	v_add_f64 v[26:27], v[20:21], v[96:97]
	v_fma_f64 v[20:21], v[18:19], s[18:19], -v[22:23]
	v_mul_f64 v[32:33], v[90:91], s[28:29]
	v_add_f64 v[34:35], v[24:25], v[122:123]
	v_add_f64 v[24:25], v[20:21], v[110:111]
	v_fma_f64 v[20:21], v[16:17], s[2:3], -v[32:33]
	v_mul_f64 v[36:37], v[88:89], s[28:29]
	v_fmac_f64_e32 v[32:33], s[2:3], v[16:17]
	v_add_f64 v[16:17], v[32:33], v[12:13]
	v_fma_f64 v[12:13], v[18:19], s[2:3], -v[36:37]
	v_add_f64 v[32:33], v[116:117], v[112:113]
	v_add_f64 v[116:117], v[116:117], -v[112:113]
	v_add_f64 v[22:23], v[20:21], v[140:141]
	v_fma_f64 v[20:21], s[2:3], v[18:19], v[36:37]
	v_add_f64 v[18:19], v[12:13], v[14:15]
	v_add_f64 v[36:37], v[120:121], v[118:119]
	v_mul_f64 v[12:13], v[116:117], s[26:27]
	v_add_f64 v[20:21], v[20:21], v[106:107]
	v_fma_f64 v[14:15], v[36:37], s[18:19], -v[12:13]
	v_mul_f64 v[106:107], v[116:117], s[22:23]
	v_add_f64 v[40:41], v[120:121], -v[118:119]
	v_add_f64 v[88:89], v[14:15], v[108:109]
	v_fma_f64 v[108:109], v[36:37], s[16:17], -v[106:107]
	v_add_f64 v[100:101], v[108:109], v[100:101]
	v_mul_f64 v[108:109], v[40:41], s[22:23]
	v_fmac_f64_e32 v[106:107], s[16:17], v[36:37]
	v_add_f64 v[104:105], v[106:107], v[104:105]
	v_fma_f64 v[106:107], v[32:33], s[16:17], -v[108:109]
	v_add_f64 v[106:107], v[106:107], v[42:43]
	v_mul_f64 v[42:43], v[116:117], s[28:29]
	v_fma_f64 v[110:111], s[16:17], v[32:33], v[108:109]
	v_fma_f64 v[108:109], v[36:37], s[2:3], -v[42:43]
	v_mul_f64 v[14:15], v[40:41], s[26:27]
	v_add_f64 v[108:109], v[108:109], v[38:39]
	v_mul_f64 v[38:39], v[40:41], s[28:29]
	v_fmac_f64_e32 v[42:43], s[2:3], v[36:37]
	v_fma_f64 v[90:91], s[18:19], v[32:33], v[14:15]
	v_add_f64 v[112:113], v[42:43], v[26:27]
	v_fma_f64 v[26:27], v[32:33], s[2:3], -v[38:39]
	v_add_f64 v[90:91], v[90:91], v[114:115]
	v_add_f64 v[114:115], v[26:27], v[24:25]
	v_mul_f64 v[24:25], v[116:117], s[20:21]
	v_fma_f64 v[26:27], v[36:37], s[14:15], -v[24:25]
	v_mul_f64 v[92:93], v[116:117], s[30:31]
	v_add_f64 v[116:117], v[26:27], v[22:23]
	v_mul_f64 v[22:23], v[40:41], s[20:21]
	v_fma_f64 v[26:27], s[14:15], v[32:33], v[22:23]
	v_add_f64 v[118:119], v[26:27], v[20:21]
	v_fma_f64 v[20:21], v[32:33], s[14:15], -v[22:23]
	v_add_f64 v[18:19], v[20:21], v[18:19]
	v_add_f64 v[20:21], v[8:9], v[208:209]
	;; [unrolled: 1-line block ×15, first 2 shown]
	v_fma_f64 v[94:95], v[36:37], s[0:1], -v[92:93]
	v_add_f64 v[20:21], v[20:21], v[196:197]
	v_add_f64 v[22:23], v[22:23], v[194:195]
	v_fmac_f64_e32 v[12:13], s[18:19], v[36:37]
	v_add_f64 v[96:97], v[94:95], v[154:155]
	v_mul_f64 v[94:95], v[40:41], s[30:31]
	v_fmac_f64_e32 v[92:93], s[0:1], v[36:37]
	v_fmac_f64_e32 v[24:25], s[14:15], v[36:37]
	v_add_f64 v[20:21], v[20:21], v[202:203]
	v_add_f64 v[22:23], v[22:23], v[28:29]
	v_add_f64 v[26:27], v[206:207], -v[30:31]
	v_add_f64 v[12:13], v[12:13], v[142:143]
	v_fma_f64 v[14:15], v[32:33], s[18:19], -v[14:15]
	v_fma_f64 v[98:99], s[0:1], v[32:33], v[94:95]
	v_add_f64 v[92:93], v[92:93], v[182:183]
	v_fma_f64 v[94:95], v[32:33], s[0:1], -v[94:95]
	v_add_f64 v[102:103], v[110:111], v[102:103]
	v_fma_f64 v[110:111], s[2:3], v[32:33], v[38:39]
	v_add_f64 v[16:17], v[24:25], v[16:17]
	v_add_f64 v[120:121], v[20:21], v[210:211]
	;; [unrolled: 1-line block ×5, first 2 shown]
	v_add_f64 v[24:25], v[208:209], -v[210:211]
	v_mul_f64 v[30:31], v[26:27], s[24:25]
	v_mul_f64 v[38:39], v[26:27], s[36:37]
	;; [unrolled: 1-line block ×5, first 2 shown]
	v_add_f64 v[14:15], v[14:15], v[146:147]
	v_add_f64 v[94:95], v[94:95], v[212:213]
	;; [unrolled: 1-line block ×3, first 2 shown]
	v_fma_f64 v[32:33], v[20:21], s[0:1], -v[30:31]
	v_mul_f64 v[34:35], v[24:25], s[24:25]
	v_fmac_f64_e32 v[30:31], s[0:1], v[20:21]
	v_fma_f64 v[40:41], v[20:21], s[2:3], -v[38:39]
	v_mul_f64 v[42:43], v[24:25], s[36:37]
	v_fmac_f64_e32 v[38:39], s[2:3], v[20:21]
	;; [unrolled: 3-line block ×5, first 2 shown]
	v_add_f64 v[98:99], v[98:99], v[176:177]
	v_add_f64 v[32:33], v[8:9], v[32:33]
	v_fma_f64 v[36:37], s[0:1], v[22:23], v[34:35]
	v_add_f64 v[30:31], v[8:9], v[30:31]
	v_fma_f64 v[34:35], v[22:23], s[0:1], -v[34:35]
	v_add_f64 v[40:41], v[8:9], v[40:41]
	v_fma_f64 v[140:141], s[2:3], v[22:23], v[42:43]
	v_add_f64 v[38:39], v[8:9], v[38:39]
	v_fma_f64 v[42:43], v[22:23], s[2:3], -v[42:43]
	;; [unrolled: 4-line block ×5, first 2 shown]
	v_add_f64 v[26:27], v[198:199], -v[28:29]
	v_add_f64 v[36:37], v[10:11], v[36:37]
	v_add_f64 v[34:35], v[10:11], v[34:35]
	;; [unrolled: 1-line block ×12, first 2 shown]
	v_mul_f64 v[28:29], v[26:27], s[36:37]
	v_add_f64 v[24:25], v[200:201], -v[202:203]
	v_fma_f64 v[198:199], v[20:21], s[2:3], -v[28:29]
	v_add_f64 v[32:33], v[198:199], v[32:33]
	v_mul_f64 v[198:199], v[24:25], s[36:37]
	v_fmac_f64_e32 v[28:29], s[2:3], v[20:21]
	v_add_f64 v[28:29], v[28:29], v[30:31]
	v_fma_f64 v[30:31], v[22:23], s[2:3], -v[198:199]
	v_add_f64 v[30:31], v[30:31], v[34:35]
	v_mul_f64 v[34:35], v[26:27], s[22:23]
	v_fma_f64 v[200:201], s[2:3], v[22:23], v[198:199]
	v_fma_f64 v[198:199], v[20:21], s[16:17], -v[34:35]
	v_add_f64 v[40:41], v[198:199], v[40:41]
	v_mul_f64 v[198:199], v[24:25], s[22:23]
	v_fmac_f64_e32 v[34:35], s[16:17], v[20:21]
	v_add_f64 v[34:35], v[34:35], v[38:39]
	v_fma_f64 v[38:39], v[22:23], s[16:17], -v[198:199]
	v_add_f64 v[38:39], v[38:39], v[42:43]
	v_mul_f64 v[42:43], v[26:27], s[38:39]
	v_add_f64 v[36:37], v[200:201], v[36:37]
	v_fma_f64 v[200:201], s[16:17], v[22:23], v[198:199]
	v_fma_f64 v[198:199], v[20:21], s[18:19], -v[42:43]
	v_add_f64 v[146:147], v[198:199], v[146:147]
	v_mul_f64 v[198:199], v[24:25], s[38:39]
	v_fmac_f64_e32 v[42:43], s[18:19], v[20:21]
	v_add_f64 v[42:43], v[42:43], v[142:143]
	v_fma_f64 v[142:143], v[22:23], s[18:19], -v[198:199]
	v_add_f64 v[140:141], v[200:201], v[140:141]
	v_fma_f64 v[200:201], s[18:19], v[22:23], v[198:199]
	v_add_f64 v[142:143], v[142:143], v[154:155]
	v_mul_f64 v[154:155], v[26:27], s[34:35]
	v_add_f64 v[176:177], v[200:201], v[176:177]
	v_fma_f64 v[198:199], v[20:21], s[14:15], -v[154:155]
	v_mul_f64 v[200:201], v[24:25], s[34:35]
	v_fmac_f64_e32 v[154:155], s[14:15], v[20:21]
	v_mul_f64 v[26:27], v[26:27], s[30:31]
	v_fma_f64 v[202:203], s[14:15], v[22:23], v[200:201]
	v_add_f64 v[154:155], v[154:155], v[182:183]
	v_fma_f64 v[182:183], v[22:23], s[14:15], -v[200:201]
	v_fma_f64 v[200:201], v[20:21], s[0:1], -v[26:27]
	v_mul_f64 v[24:25], v[24:25], s[30:31]
	v_fmac_f64_e32 v[26:27], s[0:1], v[20:21]
	v_add_f64 v[8:9], v[26:27], v[8:9]
	v_fma_f64 v[20:21], v[22:23], s[0:1], -v[24:25]
	v_add_f64 v[26:27], v[190:191], -v[194:195]
	v_add_f64 v[198:199], v[198:199], v[206:207]
	v_fma_f64 v[206:207], s[0:1], v[22:23], v[24:25]
	v_add_f64 v[10:11], v[20:21], v[10:11]
	v_add_f64 v[20:21], v[192:193], v[196:197]
	;; [unrolled: 1-line block ×3, first 2 shown]
	v_mul_f64 v[190:191], v[26:27], s[20:21]
	v_add_f64 v[24:25], v[192:193], -v[196:197]
	v_fma_f64 v[192:193], v[20:21], s[14:15], -v[190:191]
	v_add_f64 v[32:33], v[192:193], v[32:33]
	v_mul_f64 v[192:193], v[24:25], s[20:21]
	v_fmac_f64_e32 v[190:191], s[14:15], v[20:21]
	v_add_f64 v[28:29], v[190:191], v[28:29]
	v_fma_f64 v[190:191], v[22:23], s[14:15], -v[192:193]
	v_add_f64 v[30:31], v[190:191], v[30:31]
	v_mul_f64 v[190:191], v[26:27], s[38:39]
	v_fma_f64 v[194:195], s[14:15], v[22:23], v[192:193]
	v_fma_f64 v[192:193], v[20:21], s[18:19], -v[190:191]
	v_add_f64 v[40:41], v[192:193], v[40:41]
	v_mul_f64 v[192:193], v[24:25], s[38:39]
	v_fmac_f64_e32 v[190:191], s[18:19], v[20:21]
	v_add_f64 v[34:35], v[190:191], v[34:35]
	v_fma_f64 v[190:191], v[22:23], s[18:19], -v[192:193]
	v_add_f64 v[38:39], v[190:191], v[38:39]
	v_mul_f64 v[190:191], v[26:27], s[28:29]
	v_add_f64 v[36:37], v[194:195], v[36:37]
	v_fma_f64 v[194:195], s[18:19], v[22:23], v[192:193]
	v_fma_f64 v[192:193], v[20:21], s[2:3], -v[190:191]
	v_add_f64 v[146:147], v[192:193], v[146:147]
	v_mul_f64 v[192:193], v[24:25], s[28:29]
	v_fmac_f64_e32 v[190:191], s[2:3], v[20:21]
	v_add_f64 v[42:43], v[190:191], v[42:43]
	v_fma_f64 v[190:191], v[22:23], s[2:3], -v[192:193]
	v_add_f64 v[140:141], v[194:195], v[140:141]
	v_fma_f64 v[194:195], s[2:3], v[22:23], v[192:193]
	v_add_f64 v[142:143], v[190:191], v[142:143]
	v_mul_f64 v[190:191], v[26:27], s[24:25]
	v_add_f64 v[176:177], v[194:195], v[176:177]
	v_fma_f64 v[192:193], v[20:21], s[0:1], -v[190:191]
	v_mul_f64 v[194:195], v[24:25], s[24:25]
	v_fmac_f64_e32 v[190:191], s[0:1], v[20:21]
	v_add_f64 v[182:183], v[182:183], v[208:209]
	v_add_f64 v[154:155], v[190:191], v[154:155]
	v_fma_f64 v[190:191], v[22:23], s[0:1], -v[194:195]
	v_mul_f64 v[26:27], v[26:27], s[22:23]
	v_add_f64 v[182:183], v[190:191], v[182:183]
	v_fma_f64 v[190:191], v[20:21], s[16:17], -v[26:27]
	v_mul_f64 v[24:25], v[24:25], s[22:23]
	v_fmac_f64_e32 v[26:27], s[16:17], v[20:21]
	v_add_f64 v[8:9], v[26:27], v[8:9]
	v_fma_f64 v[20:21], v[22:23], s[16:17], -v[24:25]
	v_add_f64 v[26:27], v[132:133], -v[186:187]
	v_fma_f64 v[196:197], s[0:1], v[22:23], v[194:195]
	v_fma_f64 v[194:195], s[16:17], v[22:23], v[24:25]
	v_add_f64 v[10:11], v[20:21], v[10:11]
	v_add_f64 v[20:21], v[134:135], v[188:189]
	;; [unrolled: 1-line block ×3, first 2 shown]
	v_mul_f64 v[132:133], v[26:27], s[22:23]
	v_add_f64 v[24:25], v[134:135], -v[188:189]
	v_fma_f64 v[134:135], v[20:21], s[16:17], -v[132:133]
	v_add_f64 v[186:187], v[134:135], v[32:33]
	v_mul_f64 v[32:33], v[24:25], s[22:23]
	v_fma_f64 v[134:135], s[16:17], v[22:23], v[32:33]
	v_fma_f64 v[32:33], v[22:23], s[16:17], -v[32:33]
	v_add_f64 v[30:31], v[32:33], v[30:31]
	v_mul_f64 v[32:33], v[26:27], s[34:35]
	v_add_f64 v[188:189], v[134:135], v[36:37]
	v_fma_f64 v[36:37], v[20:21], s[14:15], -v[32:33]
	v_add_f64 v[202:203], v[202:203], v[210:211]
	v_add_f64 v[192:193], v[192:193], v[198:199]
	;; [unrolled: 1-line block ×3, first 2 shown]
	v_mul_f64 v[36:37], v[24:25], s[34:35]
	v_fmac_f64_e32 v[32:33], s[14:15], v[20:21]
	v_add_f64 v[206:207], v[206:207], v[214:215]
	v_add_f64 v[196:197], v[196:197], v[202:203]
	v_fmac_f64_e32 v[132:133], s[16:17], v[20:21]
	v_add_f64 v[202:203], v[32:33], v[34:35]
	v_fma_f64 v[32:33], v[22:23], s[14:15], -v[36:37]
	v_add_f64 v[200:201], v[200:201], v[212:213]
	v_add_f64 v[194:195], v[194:195], v[206:207]
	v_add_f64 v[28:29], v[132:133], v[28:29]
	v_fma_f64 v[40:41], s[14:15], v[22:23], v[36:37]
	v_add_f64 v[206:207], v[32:33], v[38:39]
	v_mul_f64 v[38:39], v[24:25], s[24:25]
	v_mul_f64 v[132:133], v[26:27], s[26:27]
	v_add_f64 v[190:191], v[190:191], v[200:201]
	v_add_f64 v[200:201], v[40:41], v[140:141]
	v_mul_f64 v[36:37], v[26:27], s[24:25]
	v_fma_f64 v[34:35], s[0:1], v[22:23], v[38:39]
	v_fma_f64 v[40:41], v[20:21], s[18:19], -v[132:133]
	v_mul_f64 v[134:135], v[24:25], s[26:27]
	v_fmac_f64_e32 v[132:133], s[18:19], v[20:21]
	v_fma_f64 v[32:33], v[20:21], s[0:1], -v[36:37]
	v_add_f64 v[34:35], v[34:35], v[176:177]
	v_add_f64 v[154:155], v[132:133], v[154:155]
	v_fma_f64 v[132:133], v[22:23], s[18:19], -v[134:135]
	v_mul_f64 v[26:27], v[26:27], s[28:29]
	v_add_f64 v[176:177], v[124:125], v[128:129]
	v_add_f64 v[128:129], v[124:125], -v[128:129]
	v_add_f64 v[32:33], v[32:33], v[146:147]
	v_fma_f64 v[38:39], v[22:23], s[0:1], -v[38:39]
	v_add_f64 v[146:147], v[132:133], v[182:183]
	v_fma_f64 v[132:133], v[20:21], s[2:3], -v[26:27]
	v_mul_f64 v[24:25], v[24:25], s[28:29]
	v_add_f64 v[182:183], v[126:127], v[130:131]
	v_mul_f64 v[124:125], v[128:129], s[22:23]
	v_fmac_f64_e32 v[36:37], s[0:1], v[20:21]
	v_add_f64 v[38:39], v[38:39], v[142:143]
	v_add_f64 v[142:143], v[132:133], v[190:191]
	v_fma_f64 v[132:133], s[2:3], v[22:23], v[24:25]
	v_fmac_f64_e32 v[26:27], s[2:3], v[20:21]
	v_add_f64 v[130:131], v[126:127], -v[130:131]
	v_fma_f64 v[126:127], v[182:183], s[16:17], -v[124:125]
	v_add_f64 v[36:37], v[36:37], v[42:43]
	v_add_f64 v[140:141], v[132:133], v[194:195]
	;; [unrolled: 1-line block ×3, first 2 shown]
	v_fma_f64 v[8:9], v[22:23], s[2:3], -v[24:25]
	v_add_f64 v[32:33], v[126:127], v[32:33]
	v_mul_f64 v[126:127], v[130:131], s[22:23]
	v_fmac_f64_e32 v[124:125], s[16:17], v[182:183]
	v_fma_f64 v[42:43], s[18:19], v[22:23], v[134:135]
	v_add_f64 v[134:135], v[8:9], v[10:11]
	v_mul_f64 v[8:9], v[128:129], s[26:27]
	v_add_f64 v[36:37], v[124:125], v[36:37]
	v_fma_f64 v[124:125], v[176:177], s[16:17], -v[126:127]
	v_fma_f64 v[10:11], v[182:183], s[18:19], -v[8:9]
	v_add_f64 v[38:39], v[124:125], v[38:39]
	v_mul_f64 v[124:125], v[128:129], s[28:29]
	v_add_f64 v[40:41], v[40:41], v[192:193]
	v_add_f64 v[20:21], v[10:11], v[186:187]
	v_fma_f64 v[186:187], s[16:17], v[176:177], v[126:127]
	v_fma_f64 v[126:127], v[182:183], s[2:3], -v[124:125]
	v_add_f64 v[40:41], v[126:127], v[40:41]
	v_mul_f64 v[126:127], v[130:131], s[28:29]
	v_add_f64 v[34:35], v[186:187], v[34:35]
	v_fma_f64 v[186:187], s[2:3], v[176:177], v[126:127]
	v_fma_f64 v[126:127], v[176:177], s[2:3], -v[126:127]
	v_add_f64 v[126:127], v[126:127], v[146:147]
	v_mul_f64 v[146:147], v[128:129], s[20:21]
	v_mul_f64 v[24:25], v[128:129], s[30:31]
	v_fma_f64 v[128:129], v[182:183], s[14:15], -v[146:147]
	v_fmac_f64_e32 v[8:9], s[18:19], v[182:183]
	v_fma_f64 v[26:27], v[182:183], s[0:1], -v[24:25]
	v_add_f64 v[128:129], v[128:129], v[142:143]
	v_mul_f64 v[142:143], v[130:131], s[20:21]
	v_mul_f64 v[10:11], v[130:131], s[26:27]
	v_add_f64 v[8:9], v[8:9], v[28:29]
	v_add_f64 v[28:29], v[26:27], v[198:199]
	v_mul_f64 v[26:27], v[130:131], s[30:31]
	v_fma_f64 v[130:131], s[14:15], v[176:177], v[142:143]
	v_add_f64 v[42:43], v[42:43], v[196:197]
	v_add_f64 v[130:131], v[130:131], v[140:141]
	v_fma_f64 v[140:141], v[176:177], s[14:15], -v[142:143]
	v_add_f64 v[142:143], v[144:145], -v[184:185]
	v_fma_f64 v[22:23], s[18:19], v[176:177], v[10:11]
	v_add_f64 v[42:43], v[186:187], v[42:43]
	v_fmac_f64_e32 v[146:147], s[14:15], v[182:183]
	v_add_f64 v[134:135], v[140:141], v[134:135]
	v_add_f64 v[190:191], v[156:157], v[138:139]
	v_add_f64 v[140:141], v[156:157], -v[138:139]
	v_mul_f64 v[186:187], v[142:143], s[24:25]
	v_add_f64 v[22:23], v[22:23], v[188:189]
	v_fmac_f64_e32 v[124:125], s[2:3], v[182:183]
	v_add_f64 v[132:133], v[146:147], v[132:133]
	v_add_f64 v[192:193], v[144:145], v[184:185]
	v_mul_f64 v[188:189], v[140:141], s[24:25]
	v_fma_f64 v[146:147], s[0:1], v[190:191], v[186:187]
	v_fma_f64 v[10:11], v[176:177], s[18:19], -v[10:11]
	v_add_f64 v[124:125], v[124:125], v[154:155]
	v_add_f64 v[154:155], v[0:1], v[146:147]
	v_fma_f64 v[146:147], v[192:193], s[0:1], -v[188:189]
	v_add_f64 v[10:11], v[10:11], v[30:31]
	v_fma_f64 v[30:31], s[0:1], v[176:177], v[26:27]
	v_fma_f64 v[26:27], v[176:177], s[0:1], -v[26:27]
	v_add_f64 v[176:177], v[2:3], v[146:147]
	v_mul_f64 v[146:147], v[142:143], s[36:37]
	v_fmac_f64_e32 v[24:25], s[0:1], v[182:183]
	v_fma_f64 v[182:183], v[190:191], s[2:3], -v[146:147]
	v_mul_f64 v[194:195], v[140:141], s[36:37]
	v_fmac_f64_e32 v[146:147], s[2:3], v[190:191]
	v_add_f64 v[30:31], v[30:31], v[200:201]
	v_add_f64 v[200:201], v[0:1], v[146:147]
	v_fma_f64 v[146:147], v[192:193], s[2:3], -v[194:195]
	v_add_f64 v[24:25], v[24:25], v[202:203]
	v_add_f64 v[202:203], v[2:3], v[146:147]
	v_mul_f64 v[146:147], v[142:143], s[20:21]
	v_fma_f64 v[196:197], s[2:3], v[192:193], v[194:195]
	v_fma_f64 v[194:195], v[190:191], s[14:15], -v[146:147]
	v_add_f64 v[26:27], v[26:27], v[206:207]
	v_add_f64 v[206:207], v[0:1], v[194:195]
	v_mul_f64 v[194:195], v[140:141], s[20:21]
	v_fmac_f64_e32 v[146:147], s[14:15], v[190:191]
	v_add_f64 v[210:211], v[0:1], v[146:147]
	v_fma_f64 v[146:147], v[192:193], s[14:15], -v[194:195]
	v_add_f64 v[212:213], v[2:3], v[146:147]
	v_mul_f64 v[146:147], v[142:143], s[22:23]
	v_add_f64 v[198:199], v[2:3], v[196:197]
	v_fma_f64 v[196:197], s[14:15], v[192:193], v[194:195]
	v_fma_f64 v[194:195], v[190:191], s[16:17], -v[146:147]
	v_add_f64 v[214:215], v[0:1], v[194:195]
	v_mul_f64 v[194:195], v[140:141], s[22:23]
	v_fmac_f64_e32 v[146:147], s[16:17], v[190:191]
	v_add_f64 v[218:219], v[0:1], v[146:147]
	v_fma_f64 v[146:147], v[192:193], s[16:17], -v[194:195]
	v_mul_f64 v[142:143], v[142:143], s[26:27]
	v_add_f64 v[220:221], v[2:3], v[146:147]
	v_fma_f64 v[146:147], v[190:191], s[18:19], -v[142:143]
	v_mul_f64 v[140:141], v[140:141], s[26:27]
	v_add_f64 v[222:223], v[0:1], v[146:147]
	v_fma_f64 v[146:147], s[18:19], v[192:193], v[140:141]
	v_fma_f64 v[140:141], v[192:193], s[18:19], -v[140:141]
	v_add_f64 v[230:231], v[148:149], -v[174:175]
	v_add_f64 v[208:209], v[2:3], v[196:197]
	v_fma_f64 v[196:197], s[16:17], v[192:193], v[194:195]
	v_add_f64 v[226:227], v[2:3], v[140:141]
	v_add_f64 v[194:195], v[162:163], v[158:159]
	v_add_f64 v[228:229], v[162:163], -v[158:159]
	v_mul_f64 v[140:141], v[230:231], s[36:37]
	v_add_f64 v[216:217], v[2:3], v[196:197]
	v_add_f64 v[224:225], v[2:3], v[146:147]
	;; [unrolled: 1-line block ×3, first 2 shown]
	v_mul_f64 v[146:147], v[228:229], s[36:37]
	v_fma_f64 v[232:233], s[2:3], v[194:195], v[140:141]
	v_add_f64 v[154:155], v[232:233], v[154:155]
	v_fma_f64 v[232:233], v[196:197], s[2:3], -v[146:147]
	v_add_f64 v[232:233], v[232:233], v[176:177]
	v_mul_f64 v[176:177], v[230:231], s[22:23]
	v_add_f64 v[182:183], v[0:1], v[182:183]
	v_fma_f64 v[234:235], v[194:195], s[16:17], -v[176:177]
	v_add_f64 v[234:235], v[234:235], v[182:183]
	v_mul_f64 v[182:183], v[228:229], s[22:23]
	v_fmac_f64_e32 v[176:177], s[16:17], v[194:195]
	v_add_f64 v[238:239], v[176:177], v[200:201]
	v_fma_f64 v[176:177], v[196:197], s[16:17], -v[182:183]
	v_add_f64 v[202:203], v[176:177], v[202:203]
	v_mul_f64 v[176:177], v[230:231], s[38:39]
	v_fma_f64 v[236:237], s[16:17], v[196:197], v[182:183]
	v_fma_f64 v[182:183], v[194:195], s[18:19], -v[176:177]
	v_add_f64 v[206:207], v[182:183], v[206:207]
	v_mul_f64 v[182:183], v[228:229], s[38:39]
	v_fmac_f64_e32 v[176:177], s[18:19], v[194:195]
	v_add_f64 v[210:211], v[176:177], v[210:211]
	v_fma_f64 v[176:177], v[196:197], s[18:19], -v[182:183]
	v_add_f64 v[212:213], v[176:177], v[212:213]
	v_mul_f64 v[176:177], v[230:231], s[34:35]
	v_add_f64 v[236:237], v[236:237], v[198:199]
	v_fma_f64 v[198:199], s[18:19], v[196:197], v[182:183]
	v_fma_f64 v[182:183], v[194:195], s[14:15], -v[176:177]
	v_add_f64 v[214:215], v[182:183], v[214:215]
	v_mul_f64 v[182:183], v[228:229], s[34:35]
	v_fmac_f64_e32 v[176:177], s[14:15], v[194:195]
	v_add_f64 v[218:219], v[176:177], v[218:219]
	v_fma_f64 v[176:177], v[196:197], s[14:15], -v[182:183]
	v_add_f64 v[220:221], v[176:177], v[220:221]
	v_mul_f64 v[176:177], v[230:231], s[30:31]
	v_fmac_f64_e32 v[142:143], s[18:19], v[190:191]
	v_add_f64 v[208:209], v[198:199], v[208:209]
	v_fma_f64 v[198:199], s[14:15], v[196:197], v[182:183]
	v_fma_f64 v[182:183], v[194:195], s[0:1], -v[176:177]
	v_add_f64 v[142:143], v[0:1], v[142:143]
	v_add_f64 v[222:223], v[182:183], v[222:223]
	v_mul_f64 v[182:183], v[228:229], s[30:31]
	v_fmac_f64_e32 v[176:177], s[0:1], v[194:195]
	v_add_f64 v[142:143], v[176:177], v[142:143]
	v_fma_f64 v[176:177], v[196:197], s[0:1], -v[182:183]
	v_add_f64 v[230:231], v[150:151], -v[168:169]
	v_add_f64 v[216:217], v[198:199], v[216:217]
	v_fma_f64 v[198:199], s[0:1], v[196:197], v[182:183]
	v_add_f64 v[226:227], v[176:177], v[226:227]
	v_add_f64 v[182:183], v[170:171], v[172:173]
	v_add_f64 v[228:229], v[170:171], -v[172:173]
	v_mul_f64 v[176:177], v[230:231], s[20:21]
	v_add_f64 v[224:225], v[198:199], v[224:225]
	v_add_f64 v[198:199], v[150:151], v[168:169]
	v_mul_f64 v[200:201], v[228:229], s[20:21]
	v_fma_f64 v[240:241], s[14:15], v[182:183], v[176:177]
	v_add_f64 v[240:241], v[240:241], v[154:155]
	v_fma_f64 v[154:155], v[198:199], s[14:15], -v[200:201]
	v_add_f64 v[232:233], v[154:155], v[232:233]
	v_mul_f64 v[154:155], v[230:231], s[38:39]
	v_fma_f64 v[242:243], v[182:183], s[18:19], -v[154:155]
	v_add_f64 v[234:235], v[242:243], v[234:235]
	v_mul_f64 v[242:243], v[228:229], s[38:39]
	v_fmac_f64_e32 v[154:155], s[18:19], v[182:183]
	v_add_f64 v[238:239], v[154:155], v[238:239]
	v_fma_f64 v[154:155], v[198:199], s[18:19], -v[242:243]
	v_fma_f64 v[244:245], s[18:19], v[198:199], v[242:243]
	v_add_f64 v[242:243], v[154:155], v[202:203]
	v_mul_f64 v[154:155], v[230:231], s[28:29]
	v_fma_f64 v[202:203], v[182:183], s[2:3], -v[154:155]
	v_add_f64 v[236:237], v[244:245], v[236:237]
	v_add_f64 v[244:245], v[202:203], v[206:207]
	v_mul_f64 v[202:203], v[228:229], s[28:29]
	v_fmac_f64_e32 v[154:155], s[2:3], v[182:183]
	v_add_f64 v[210:211], v[154:155], v[210:211]
	v_fma_f64 v[154:155], v[198:199], s[2:3], -v[202:203]
	v_add_f64 v[212:213], v[154:155], v[212:213]
	v_mul_f64 v[154:155], v[230:231], s[24:25]
	v_fma_f64 v[206:207], s[2:3], v[198:199], v[202:203]
	v_fma_f64 v[202:203], v[182:183], s[0:1], -v[154:155]
	v_add_f64 v[214:215], v[202:203], v[214:215]
	v_mul_f64 v[202:203], v[228:229], s[24:25]
	v_fmac_f64_e32 v[154:155], s[0:1], v[182:183]
	v_add_f64 v[218:219], v[154:155], v[218:219]
	v_fma_f64 v[154:155], v[198:199], s[0:1], -v[202:203]
	v_add_f64 v[220:221], v[154:155], v[220:221]
	v_mul_f64 v[154:155], v[230:231], s[22:23]
	v_add_f64 v[208:209], v[206:207], v[208:209]
	v_fma_f64 v[206:207], s[0:1], v[198:199], v[202:203]
	v_fma_f64 v[202:203], v[182:183], s[16:17], -v[154:155]
	v_add_f64 v[222:223], v[202:203], v[222:223]
	v_mul_f64 v[202:203], v[228:229], s[22:23]
	v_fmac_f64_e32 v[154:155], s[16:17], v[182:183]
	v_add_f64 v[248:249], v[154:155], v[142:143]
	v_fma_f64 v[142:143], v[198:199], s[16:17], -v[202:203]
	v_add_f64 v[254:255], v[152:153], -v[166:167]
	v_add_f64 v[216:217], v[206:207], v[216:217]
	v_fma_f64 v[206:207], s[16:17], v[198:199], v[202:203]
	v_add_f64 v[250:251], v[142:143], v[226:227]
	v_add_f64 v[154:155], v[204:205], v[178:179]
	v_add_f64 v[252:253], v[204:205], -v[178:179]
	v_mul_f64 v[142:143], v[254:255], s[22:23]
	v_accvgpr_write_b32 a88, v138
	v_add_f64 v[246:247], v[206:207], v[224:225]
	v_add_f64 v[202:203], v[152:153], v[166:167]
	v_mul_f64 v[206:207], v[252:253], s[22:23]
	v_fma_f64 v[224:225], s[16:17], v[154:155], v[142:143]
	v_accvgpr_write_b32 a89, v139
	v_add_f64 v[138:139], v[224:225], v[240:241]
	v_fma_f64 v[224:225], v[202:203], s[16:17], -v[206:207]
	v_add_f64 v[156:157], v[224:225], v[232:233]
	v_mul_f64 v[224:225], v[254:255], s[34:35]
	v_accvgpr_write_b32 a86, v158
	v_fma_f64 v[226:227], v[154:155], s[14:15], -v[224:225]
	v_accvgpr_write_b32 a87, v159
	v_add_f64 v[158:159], v[226:227], v[234:235]
	v_mul_f64 v[226:227], v[252:253], s[34:35]
	v_fmac_f64_e32 v[224:225], s[14:15], v[154:155]
	v_add_f64 v[170:171], v[224:225], v[238:239]
	v_fma_f64 v[224:225], v[202:203], s[14:15], -v[226:227]
	v_add_f64 v[172:173], v[224:225], v[242:243]
	v_mul_f64 v[224:225], v[254:255], s[24:25]
	v_fma_f64 v[228:229], s[14:15], v[202:203], v[226:227]
	v_fma_f64 v[226:227], v[154:155], s[0:1], -v[224:225]
	v_add_f64 v[240:241], v[226:227], v[244:245]
	v_mul_f64 v[226:227], v[252:253], s[24:25]
	v_add_f64 v[162:163], v[228:229], v[236:237]
	v_fma_f64 v[228:229], s[0:1], v[202:203], v[226:227]
	v_add_f64 v[242:243], v[228:229], v[208:209]
	v_fma_f64 v[208:209], v[202:203], s[0:1], -v[226:227]
	v_fmac_f64_e32 v[224:225], s[0:1], v[154:155]
	v_add_f64 v[238:239], v[208:209], v[212:213]
	v_mul_f64 v[208:209], v[254:255], s[26:27]
	v_add_f64 v[236:237], v[224:225], v[210:211]
	v_fma_f64 v[210:211], v[154:155], s[18:19], -v[208:209]
	v_add_f64 v[228:229], v[210:211], v[214:215]
	v_mul_f64 v[210:211], v[252:253], s[26:27]
	v_fmac_f64_e32 v[208:209], s[18:19], v[154:155]
	v_add_f64 v[224:225], v[208:209], v[218:219]
	v_fma_f64 v[208:209], v[202:203], s[18:19], -v[210:211]
	v_add_f64 v[226:227], v[208:209], v[220:221]
	v_mul_f64 v[208:209], v[254:255], s[28:29]
	v_fma_f64 v[212:213], s[18:19], v[202:203], v[210:211]
	v_fma_f64 v[210:211], v[154:155], s[2:3], -v[208:209]
	v_add_f64 v[220:221], v[210:211], v[222:223]
	v_mul_f64 v[210:211], v[252:253], s[28:29]
	v_fmac_f64_e32 v[208:209], s[2:3], v[154:155]
	v_add_f64 v[230:231], v[212:213], v[216:217]
	v_add_f64 v[216:217], v[208:209], v[248:249]
	v_fma_f64 v[208:209], v[202:203], s[2:3], -v[210:211]
	v_accvgpr_read_b32 v249, a61
	v_add_f64 v[218:219], v[208:209], v[250:251]
	v_accvgpr_read_b32 v251, a59
	v_accvgpr_read_b32 v248, a60
	;; [unrolled: 1-line block ×3, first 2 shown]
	v_add_f64 v[234:235], v[160:161], -v[164:165]
	v_fma_f64 v[212:213], s[2:3], v[202:203], v[210:211]
	v_add_f64 v[210:211], v[248:249], v[250:251]
	v_add_f64 v[232:233], v[248:249], -v[250:251]
	v_mul_f64 v[208:209], v[234:235], s[26:27]
	v_add_f64 v[222:223], v[212:213], v[246:247]
	v_add_f64 v[212:213], v[160:161], v[164:165]
	v_mul_f64 v[214:215], v[232:233], s[26:27]
	v_fma_f64 v[244:245], s[18:19], v[210:211], v[208:209]
	v_add_f64 v[244:245], v[244:245], v[138:139]
	v_fma_f64 v[138:139], v[212:213], s[18:19], -v[214:215]
	v_add_f64 v[246:247], v[138:139], v[156:157]
	v_mul_f64 v[138:139], v[234:235], s[30:31]
	v_accvgpr_write_b32 a62, v244
	v_fma_f64 v[156:157], v[210:211], s[0:1], -v[138:139]
	v_accvgpr_write_b32 a63, v245
	v_accvgpr_write_b32 a64, v246
	;; [unrolled: 1-line block ×3, first 2 shown]
	v_add_f64 v[244:245], v[156:157], v[158:159]
	v_mul_f64 v[156:157], v[232:233], s[30:31]
	v_fmac_f64_e32 v[138:139], s[0:1], v[210:211]
	v_add_f64 v[170:171], v[138:139], v[170:171]
	v_fma_f64 v[138:139], v[212:213], s[0:1], -v[156:157]
	v_add_f64 v[172:173], v[138:139], v[172:173]
	v_mul_f64 v[138:139], v[234:235], s[22:23]
	v_fma_f64 v[158:159], s[0:1], v[212:213], v[156:157]
	v_accvgpr_write_b32 a66, v170
	v_fma_f64 v[156:157], v[210:211], s[16:17], -v[138:139]
	v_accvgpr_write_b32 a67, v171
	v_accvgpr_write_b32 a68, v172
	;; [unrolled: 1-line block ×3, first 2 shown]
	v_add_f64 v[170:171], v[156:157], v[240:241]
	v_mul_f64 v[156:157], v[232:233], s[22:23]
	v_add_f64 v[246:247], v[158:159], v[162:163]
	v_fma_f64 v[158:159], s[16:17], v[212:213], v[156:157]
	v_add_f64 v[172:173], v[158:159], v[242:243]
	v_accvgpr_write_b32 a70, v170
	v_fmac_f64_e32 v[138:139], s[16:17], v[210:211]
	v_accvgpr_write_b32 a71, v171
	v_accvgpr_write_b32 a72, v172
	;; [unrolled: 1-line block ×3, first 2 shown]
	v_add_f64 v[170:171], v[138:139], v[236:237]
	v_fma_f64 v[138:139], v[212:213], s[16:17], -v[156:157]
	v_add_f64 v[172:173], v[138:139], v[238:239]
	v_mul_f64 v[138:139], v[234:235], s[28:29]
	v_accvgpr_write_b32 a74, v170
	v_fma_f64 v[156:157], v[210:211], s[2:3], -v[138:139]
	v_accvgpr_write_b32 a75, v171
	v_accvgpr_write_b32 a76, v172
	;; [unrolled: 1-line block ×3, first 2 shown]
	v_add_f64 v[170:171], v[156:157], v[228:229]
	v_mul_f64 v[156:157], v[232:233], s[28:29]
	v_fma_f64 v[158:159], s[2:3], v[212:213], v[156:157]
	v_add_f64 v[172:173], v[158:159], v[230:231]
	v_accvgpr_write_b32 a78, v170
	v_fmac_f64_e32 v[138:139], s[2:3], v[210:211]
	v_accvgpr_write_b32 a79, v171
	v_accvgpr_write_b32 a80, v172
	;; [unrolled: 1-line block ×3, first 2 shown]
	v_add_f64 v[170:171], v[138:139], v[224:225]
	v_fma_f64 v[138:139], v[212:213], s[2:3], -v[156:157]
	v_add_f64 v[172:173], v[138:139], v[226:227]
	v_mul_f64 v[138:139], v[234:235], s[20:21]
	v_accvgpr_write_b32 a94, v170
	v_fma_f64 v[156:157], v[210:211], s[14:15], -v[138:139]
	v_accvgpr_write_b32 a95, v171
	v_accvgpr_write_b32 a96, v172
	;; [unrolled: 1-line block ×3, first 2 shown]
	v_add_f64 v[170:171], v[156:157], v[220:221]
	v_mul_f64 v[156:157], v[232:233], s[20:21]
	v_fma_f64 v[158:159], s[14:15], v[212:213], v[156:157]
	v_add_f64 v[172:173], v[158:159], v[222:223]
	v_accvgpr_write_b32 a102, v170
	v_fmac_f64_e32 v[138:139], s[14:15], v[210:211]
	v_accvgpr_write_b32 a103, v171
	v_accvgpr_write_b32 a104, v172
	v_accvgpr_write_b32 a105, v173
	v_add_f64 v[170:171], v[138:139], v[216:217]
	v_fma_f64 v[138:139], v[212:213], s[14:15], -v[156:157]
	v_add_f64 v[172:173], v[138:139], v[218:219]
	v_accvgpr_read_b32 v138, a0
	v_mul_u32_u24_e32 v138, 0x4d, v138
	v_add_lshl_u32 v181, v138, v181, 4
	s_waitcnt lgkmcnt(0)
	; wave barrier
	ds_write_b128 v181, v[4:7]
	ds_write_b128 v181, v[48:51] offset:112
	ds_write_b128 v181, v[56:59] offset:224
	;; [unrolled: 1-line block ×10, first 2 shown]
	v_accvgpr_read_b32 v4, a1
	v_mul_u32_u24_e32 v4, 0x4d, v4
	v_accvgpr_read_b32 v5, a85
	v_add_lshl_u32 v204, v4, v5, 4
	v_accvgpr_read_b32 v4, a90
	v_accvgpr_write_b32 a58, v244
	v_accvgpr_write_b32 a114, v170
	v_mul_u32_u24_e32 v4, 0x4d, v4
	v_accvgpr_write_b32 a59, v245
	v_accvgpr_write_b32 a60, v246
	;; [unrolled: 1-line block ×6, first 2 shown]
	v_add_lshl_u32 v205, v4, v136, 4
	ds_write_b128 v204, v[84:87]
	ds_write_b128 v204, v[88:91] offset:112
	ds_write_b128 v204, v[96:99] offset:224
	;; [unrolled: 1-line block ×10, first 2 shown]
	ds_write_b128 v205, v[120:123]
	ds_write_b128 v205, v[20:23] offset:112
	ds_write_b128 v205, v[28:31] offset:224
	;; [unrolled: 1-line block ×10, first 2 shown]
	s_and_saveexec_b64 s[20:21], vcc
	s_cbranch_execz .LBB0_5
; %bb.4:
	v_mul_f64 v[4:5], v[190:191], s[0:1]
	v_mul_f64 v[8:9], v[194:195], s[2:3]
	v_add_f64 v[4:5], v[4:5], -v[186:187]
	v_add_f64 v[8:9], v[8:9], -v[140:141]
	v_add_f64 v[4:5], v[0:1], v[4:5]
	v_add_f64 v[4:5], v[8:9], v[4:5]
	v_accvgpr_read_b32 v9, a3
	v_accvgpr_read_b32 v8, a2
	v_add_f64 v[0:1], v[0:1], v[8:9]
	v_accvgpr_read_b32 v9, a5
	v_accvgpr_read_b32 v8, a4
	v_add_f64 v[0:1], v[0:1], v[8:9]
	v_accvgpr_read_b32 v9, a7
	v_accvgpr_read_b32 v8, a6
	v_add_f64 v[0:1], v[0:1], v[8:9]
	v_accvgpr_read_b32 v8, a12
	v_accvgpr_read_b32 v9, a13
	v_add_f64 v[0:1], v[0:1], v[8:9]
	v_add_f64 v[0:1], v[0:1], v[248:249]
	v_accvgpr_read_b32 v8, a14
	v_add_f64 v[0:1], v[0:1], v[250:251]
	v_accvgpr_read_b32 v9, a15
	v_add_f64 v[0:1], v[0:1], v[8:9]
	v_accvgpr_read_b32 v8, a82
	v_accvgpr_read_b32 v9, a83
	v_add_f64 v[0:1], v[0:1], v[8:9]
	v_accvgpr_read_b32 v8, a86
	v_accvgpr_read_b32 v9, a87
	v_add_f64 v[0:1], v[0:1], v[8:9]
	v_accvgpr_read_b32 v8, a88
	v_accvgpr_read_b32 v9, a89
	v_add_f64 v[0:1], v[0:1], v[8:9]
	scratch_load_dword v8, off, off offset:224 ; 4-byte Folded Reload
	scratch_load_dword v9, off, off offset:228 ; 4-byte Folded Reload
	v_mul_f64 v[6:7], v[192:193], s[0:1]
	v_add_f64 v[6:7], v[188:189], v[6:7]
	v_add_f64 v[6:7], v[2:3], v[6:7]
	;; [unrolled: 1-line block ×7, first 2 shown]
	v_mul_f64 v[10:11], v[196:197], s[2:3]
	v_add_f64 v[2:3], v[2:3], v[164:165]
	v_mul_f64 v[12:13], v[182:183], s[14:15]
	v_mul_f64 v[14:15], v[198:199], s[14:15]
	v_add_f64 v[10:11], v[146:147], v[10:11]
	v_add_f64 v[2:3], v[2:3], v[166:167]
	v_mul_f64 v[16:17], v[154:155], s[16:17]
	v_mul_f64 v[18:19], v[202:203], s[16:17]
	v_add_f64 v[14:15], v[200:201], v[14:15]
	v_add_f64 v[6:7], v[10:11], v[6:7]
	v_add_f64 v[12:13], v[12:13], -v[176:177]
	v_add_f64 v[2:3], v[2:3], v[168:169]
	v_mul_f64 v[20:21], v[210:211], s[18:19]
	v_mul_f64 v[22:23], v[212:213], s[18:19]
	v_add_f64 v[18:19], v[206:207], v[18:19]
	v_add_f64 v[6:7], v[14:15], v[6:7]
	v_add_f64 v[14:15], v[16:17], -v[142:143]
	v_add_f64 v[4:5], v[12:13], v[4:5]
	v_add_f64 v[2:3], v[2:3], v[174:175]
	;; [unrolled: 1-line block ×4, first 2 shown]
	v_add_f64 v[10:11], v[20:21], -v[208:209]
	v_add_f64 v[4:5], v[14:15], v[4:5]
	v_add_f64 v[2:3], v[2:3], v[184:185]
	;; [unrolled: 1-line block ×4, first 2 shown]
	s_waitcnt vmcnt(1)
	v_mul_u32_u24_e32 v8, 0x4d, v8
	s_waitcnt vmcnt(0)
	v_add_lshl_u32 v8, v8, v9, 4
	ds_write_b128 v8, v[0:3]
	ds_write_b128 v8, v[4:7] offset:112
	ds_write_b128 v8, a[58:61] offset:224
	;; [unrolled: 1-line block ×10, first 2 shown]
.LBB0_5:
	s_or_b64 exec, exec, s[20:21]
	v_accvgpr_read_b32 v203, a41
	v_accvgpr_read_b32 v202, a40
	v_lshlrev_b32_e32 v136, 4, v202
	v_lshl_add_u64 v[104:105], s[8:9], 0, v[136:137]
	v_lshlrev_b32_e32 v136, 6, v202
	s_waitcnt lgkmcnt(0)
	; wave barrier
	s_waitcnt lgkmcnt(0)
	global_load_dwordx4 v[122:125], v136, s[10:11] offset:1120
	global_load_dwordx4 v[118:121], v136, s[10:11] offset:1136
	;; [unrolled: 1-line block ×3, first 2 shown]
	ds_read_b128 v[96:99], v180 offset:6160
	ds_read_b128 v[92:95], v180 offset:12320
	ds_read_b128 v[88:91], v180 offset:18480
	ds_read_b128 v[84:87], v180 offset:24640
	ds_read_b128 v[12:15], v180 offset:7040
	ds_read_b128 v[8:11], v180 offset:13200
	ds_read_b128 v[4:7], v180 offset:19360
	ds_read_b128 v[0:3], v180 offset:25520
	global_load_dwordx4 v[126:129], v136, s[10:11] offset:1168
	s_movk_i32 s14, 0xffea
	s_mov_b32 s15, -1
	v_accvgpr_read_b32 v184, a254
	v_cmp_gt_u16_e64 s[0:1], 22, v202
	v_lshl_add_u64 v[16:17], v[202:203], 0, s[14:15]
	v_accvgpr_read_b32 v185, a255
	v_cndmask_b32_e64 v103, v17, v185, s[0:1]
	v_cndmask_b32_e64 v102, v16, v184, s[0:1]
	v_lshlrev_b64 v[16:17], 6, v[102:103]
	v_lshl_add_u64 v[72:73], s[10:11], 0, v[16:17]
	global_load_dwordx4 v[130:133], v[72:73], off offset:1120
	ds_read_b128 v[68:71], v180 offset:7920
	ds_read_b128 v[64:67], v180 offset:14080
	;; [unrolled: 1-line block ×12, first 2 shown]
	global_load_dwordx4 v[166:169], v[72:73], off offset:1136
	ds_read_b128 v[20:23], v180 offset:10560
	ds_read_b128 v[16:19], v180 offset:16720
	global_load_dwordx4 v[194:197], v[72:73], off offset:1152
	global_load_dwordx4 v[190:193], v[72:73], off offset:1168
	s_movk_i32 s1, 0xd5
	v_accvgpr_read_b32 v186, a144
	v_mul_lo_u16_sdwa v74, v186, s1 dst_sel:DWORD dst_unused:UNUSED_PAD src0_sel:BYTE_0 src1_sel:DWORD
	v_lshrrev_b16_e32 v185, 14, v74
	v_mul_lo_u16_e32 v74, 0x4d, v185
	v_sub_u16_e32 v72, v186, v74
	v_and_b32_e32 v187, 0xff, v72
	v_accvgpr_read_b32 v210, a84
	v_lshlrev_b32_e32 v100, 6, v187
	v_mul_lo_u16_sdwa v103, v210, s1 dst_sel:DWORD dst_unused:UNUSED_PAD src0_sel:BYTE_0 src1_sel:DWORD
	s_mov_b64 s[8:9], 0x113
	global_load_dwordx4 v[206:209], v100, s[10:11] offset:1120
	v_lshrrev_b16_e32 v103, 14, v103
	ds_read_b128 v[80:83], v180 offset:22880
	ds_read_b128 v[76:79], v180 offset:29040
	;; [unrolled: 1-line block ×3, first 2 shown]
	global_load_dwordx4 v[198:201], v100, s[10:11] offset:1136
	global_load_dwordx4 v[244:247], v100, s[10:11] offset:1152
	s_movk_i32 s0, 0x1a99
	v_lshl_add_u64 v[108:109], v[202:203], 0, s[8:9]
	global_load_dwordx4 v[236:239], v100, s[10:11] offset:1168
	v_mul_lo_u16_e32 v100, 0x4d, v103
	v_accvgpr_read_b32 v188, a214
	s_mov_b64 s[2:3], 0x14a
	v_mov_b32_e32 v101, 6
	v_sub_u16_e32 v109, v210, v100
	v_mul_u32_u24_sdwa v103, v188, s0 dst_sel:DWORD dst_unused:UNUSED_PAD src0_sel:WORD_0 src1_sel:DWORD
	v_lshl_add_u64 v[106:107], v[202:203], 0, s[2:3]
	v_lshlrev_b32_sdwa v110, v101, v109 dst_sel:DWORD dst_unused:UNUSED_PAD src0_sel:DWORD src1_sel:BYTE_0
	v_lshrrev_b32_e32 v103, 19, v103
	global_load_dwordx4 v[228:231], v110, s[10:11] offset:1120
	global_load_dwordx4 v[224:227], v110, s[10:11] offset:1136
	v_mul_lo_u16_e32 v107, 0x4d, v103
	v_sub_u16_e32 v107, v188, v107
	v_lshl_add_u64 v[100:101], s[10:11], 0, v[136:137]
	global_load_dwordx4 v[212:215], v110, s[10:11] offset:1168
	global_load_dwordx4 v[216:219], v110, s[10:11] offset:1152
	v_lshlrev_b16_e32 v136, 6, v107
	s_mov_b32 s2, 0x134454ff
	s_mov_b32 s3, 0x3fee6f0e
	;; [unrolled: 1-line block ×10, first 2 shown]
	s_movk_i32 s22, 0x1000
	s_mov_b64 s[20:21], 0x17a0
	s_mov_b32 s23, 0xbfe77f67
	s_mov_b32 s25, 0x3fd5d0dc
	v_accvgpr_write_b32 a40, v202
	s_waitcnt vmcnt(15) lgkmcnt(14)
	v_mul_f64 v[110:111], v[98:99], v[124:125]
	s_waitcnt vmcnt(14)
	v_mul_f64 v[112:113], v[94:95], v[120:121]
	v_fma_f64 v[146:147], v[92:93], v[118:119], -v[112:113]
	v_mul_f64 v[144:145], v[92:93], v[120:121]
	s_waitcnt vmcnt(13)
	v_mul_f64 v[92:93], v[90:91], v[116:117]
	v_fma_f64 v[150:151], v[88:89], v[114:115], -v[92:93]
	v_mul_f64 v[148:149], v[88:89], v[116:117]
	v_mul_u32_u24_sdwa v88, v108, s0 dst_sel:DWORD dst_unused:UNUSED_PAD src0_sel:WORD_0 src1_sel:DWORD
	v_mul_f64 v[140:141], v[96:97], v[124:125]
	v_fma_f64 v[142:143], v[96:97], v[122:123], -v[110:111]
	v_lshl_add_u64 v[96:97], s[10:11], 0, v[136:137]
	v_lshrrev_b32_e32 v189, 19, v88
	global_load_dwordx4 v[248:251], v[96:97], off offset:1120
	global_load_dwordx4 v[240:243], v[96:97], off offset:1136
	v_mul_lo_u16_e32 v88, 0x4d, v189
	v_sub_u16_e32 v203, v108, v88
	s_waitcnt vmcnt(14)
	v_mul_f64 v[152:153], v[84:85], v[128:129]
	v_lshlrev_b16_e32 v136, 6, v203
	v_fmac_f64_e32 v[148:149], v[90:91], v[114:115]
	v_mul_f64 v[90:91], v[86:87], v[128:129]
	v_fmac_f64_e32 v[152:153], v[86:87], v[126:127]
	v_mul_u32_u24_sdwa v86, v106, s0 dst_sel:DWORD dst_unused:UNUSED_PAD src0_sel:WORD_0 src1_sel:DWORD
	global_load_dwordx4 v[232:235], v[96:97], off offset:1152
	global_load_dwordx4 v[220:223], v[96:97], off offset:1168
	v_lshl_add_u64 v[88:89], s[10:11], 0, v[136:137]
	v_lshrrev_b32_e32 v86, 19, v86
	v_fmac_f64_e32 v[144:145], v[94:95], v[118:119]
	global_load_dwordx4 v[92:95], v[88:89], off offset:1120
	global_load_dwordx4 v[176:179], v[88:89], off offset:1136
	v_mul_lo_u16_e32 v86, 0x4d, v86
	v_sub_u16_e32 v211, v106, v86
	v_lshlrev_b16_e32 v136, 6, v211
	global_load_dwordx4 v[172:175], v[88:89], off offset:1152
	global_load_dwordx4 v[252:255], v[88:89], off offset:1168
	v_lshl_add_u64 v[182:183], s[10:11], 0, v[136:137]
	v_fma_f64 v[154:155], v[84:85], v[126:127], -v[90:91]
	global_load_dwordx4 v[88:91], v[182:183], off offset:1120
	s_waitcnt vmcnt(20)
	v_mul_f64 v[84:85], v[14:15], v[132:133]
	v_fma_f64 v[158:159], v[12:13], v[130:131], -v[84:85]
	v_mul_f64 v[156:157], v[12:13], v[132:133]
	s_waitcnt vmcnt(19)
	v_mul_f64 v[12:13], v[10:11], v[168:169]
	v_fma_f64 v[164:165], v[8:9], v[166:167], -v[12:13]
	v_mul_f64 v[160:161], v[8:9], v[168:169]
	v_accvgpr_write_b32 a110, v166
	s_waitcnt vmcnt(18)
	v_mul_f64 v[8:9], v[6:7], v[196:197]
	v_mul_f64 v[162:163], v[4:5], v[196:197]
	v_accvgpr_write_b32 a111, v167
	v_accvgpr_write_b32 a112, v168
	v_accvgpr_write_b32 a113, v169
	v_fmac_f64_e32 v[160:161], v[10:11], v[166:167]
	v_fma_f64 v[166:167], v[4:5], v[194:195], -v[8:9]
	v_fmac_f64_e32 v[162:163], v[6:7], v[194:195]
	global_load_dwordx4 v[6:9], v[182:183], off offset:1136
	s_waitcnt vmcnt(18)
	v_mul_f64 v[4:5], v[2:3], v[192:193]
	v_accvgpr_write_b32 a106, v130
	v_fma_f64 v[170:171], v[0:1], v[190:191], -v[4:5]
	v_mul_f64 v[168:169], v[0:1], v[192:193]
	s_waitcnt vmcnt(17)
	v_mul_f64 v[0:1], v[70:71], v[208:209]
	v_accvgpr_write_b32 a107, v131
	v_accvgpr_write_b32 a108, v132
	;; [unrolled: 1-line block ×3, first 2 shown]
	v_fmac_f64_e32 v[156:157], v[14:15], v[130:131]
	v_fma_f64 v[130:131], v[68:69], v[206:207], -v[0:1]
	s_waitcnt vmcnt(16)
	v_mul_f64 v[0:1], v[66:67], v[200:201]
	v_fma_f64 v[132:133], v[64:65], v[198:199], -v[0:1]
	s_waitcnt vmcnt(15)
	v_mul_f64 v[0:1], v[62:63], v[246:247]
	v_fma_f64 v[134:135], v[60:61], v[244:245], -v[0:1]
	s_waitcnt vmcnt(14) lgkmcnt(13)
	v_mul_f64 v[0:1], v[58:59], v[238:239]
	v_accvgpr_write_b32 a82, v114
	v_fma_f64 v[138:139], v[56:57], v[236:237], -v[0:1]
	s_waitcnt vmcnt(13) lgkmcnt(12)
	v_mul_f64 v[0:1], v[54:55], v[230:231]
	v_accvgpr_write_b32 a83, v115
	v_accvgpr_write_b32 a84, v116
	;; [unrolled: 1-line block ×3, first 2 shown]
	v_fma_f64 v[114:115], v[52:53], v[228:229], -v[0:1]
	s_waitcnt vmcnt(12) lgkmcnt(11)
	v_mul_f64 v[0:1], v[50:51], v[226:227]
	v_accvgpr_write_b32 a86, v118
	v_fma_f64 v[116:117], v[48:49], v[224:225], -v[0:1]
	s_waitcnt vmcnt(10) lgkmcnt(10)
	v_mul_f64 v[0:1], v[46:47], v[218:219]
	v_accvgpr_write_b32 a87, v119
	v_accvgpr_write_b32 a88, v120
	;; [unrolled: 1-line block ×3, first 2 shown]
	v_fma_f64 v[118:119], v[44:45], v[216:217], -v[0:1]
	s_waitcnt lgkmcnt(9)
	v_mul_f64 v[0:1], v[42:43], v[214:215]
	v_accvgpr_write_b32 a122, v194
	v_fma_f64 v[120:121], v[40:41], v[212:213], -v[0:1]
	v_accvgpr_write_b32 a123, v195
	v_accvgpr_write_b32 a124, v196
	;; [unrolled: 1-line block ×8, first 2 shown]
	s_waitcnt vmcnt(9) lgkmcnt(8)
	v_mul_f64 v[0:1], v[38:39], v[250:251]
	v_fma_f64 v[194:195], v[36:37], v[248:249], -v[0:1]
	s_waitcnt vmcnt(8) lgkmcnt(7)
	v_mul_f64 v[0:1], v[34:35], v[242:243]
	v_fma_f64 v[196:197], v[32:33], v[240:241], -v[0:1]
	v_fmac_f64_e32 v[168:169], v[2:3], v[190:191]
	v_accvgpr_write_b32 a99, v127
	v_accvgpr_write_b32 a100, v128
	;; [unrolled: 1-line block ×3, first 2 shown]
	v_mul_f64 v[128:129], v[56:57], v[238:239]
	s_waitcnt vmcnt(7) lgkmcnt(6)
	v_mul_f64 v[0:1], v[30:31], v[234:235]
	v_fma_f64 v[190:191], v[28:29], v[232:233], -v[0:1]
	s_waitcnt vmcnt(6) lgkmcnt(5)
	v_mul_f64 v[0:1], v[26:27], v[222:223]
	v_fma_f64 v[192:193], v[24:25], v[220:221], -v[0:1]
	v_fmac_f64_e32 v[128:129], v[58:59], v[236:237]
	s_waitcnt vmcnt(5) lgkmcnt(4)
	v_mul_f64 v[0:1], v[22:23], v[94:95]
	v_fma_f64 v[58:59], v[20:21], v[92:93], -v[0:1]
	s_waitcnt vmcnt(4) lgkmcnt(3)
	v_mul_f64 v[0:1], v[18:19], v[178:179]
	v_accvgpr_write_b32 a90, v122
	v_mul_f64 v[126:127], v[60:61], v[246:247]
	v_fma_f64 v[60:61], v[16:17], v[176:177], -v[0:1]
	s_waitcnt vmcnt(3) lgkmcnt(2)
	v_mul_f64 v[0:1], v[82:83], v[174:175]
	v_accvgpr_write_b32 a91, v123
	v_accvgpr_write_b32 a92, v124
	;; [unrolled: 1-line block ×3, first 2 shown]
	v_mul_f64 v[124:125], v[64:65], v[200:201]
	v_fma_f64 v[64:65], v[80:81], v[172:173], -v[0:1]
	s_waitcnt vmcnt(2) lgkmcnt(1)
	v_mul_f64 v[0:1], v[78:79], v[254:255]
	v_fmac_f64_e32 v[124:125], v[66:67], v[198:199]
	v_fma_f64 v[66:67], v[76:77], v[252:253], -v[0:1]
	s_waitcnt vmcnt(1) lgkmcnt(0)
	v_mul_f64 v[0:1], v[74:75], v[90:91]
	v_mul_f64 v[112:113], v[40:41], v[214:215]
	v_fma_f64 v[40:41], v[72:73], v[88:89], -v[0:1]
	ds_read_b128 v[0:3], v180 offset:17600
	v_fmac_f64_e32 v[140:141], v[98:99], v[122:123]
	v_mul_f64 v[122:123], v[68:69], v[208:209]
	v_mul_f64 v[68:69], v[36:37], v[250:251]
	;; [unrolled: 1-line block ×3, first 2 shown]
	v_fmac_f64_e32 v[68:69], v[38:39], v[248:249]
	v_fmac_f64_e32 v[86:87], v[26:27], v[220:221]
	ds_read_b128 v[24:27], v180
	s_waitcnt vmcnt(0) lgkmcnt(1)
	v_mul_f64 v[4:5], v[2:3], v[8:9]
	v_mul_f64 v[38:39], v[0:1], v[8:9]
	v_accvgpr_write_b32 a197, v9
	v_mul_f64 v[110:111], v[44:45], v[218:219]
	v_fma_f64 v[44:45], v[0:1], v[6:7], -v[4:5]
	v_accvgpr_write_b32 a196, v8
	v_accvgpr_write_b32 a195, v7
	;; [unrolled: 1-line block ×3, first 2 shown]
	v_fmac_f64_e32 v[38:39], v[2:3], v[6:7]
	global_load_dwordx4 v[6:9], v[182:183], off offset:1152
	ds_read_b128 v[0:3], v180 offset:23760
	v_mul_f64 v[96:97], v[52:53], v[230:231]
	v_fmac_f64_e32 v[112:113], v[42:43], v[212:213]
	v_fmac_f64_e32 v[96:97], v[54:55], v[228:229]
	v_mul_f64 v[98:99], v[48:49], v[226:227]
	v_fmac_f64_e32 v[98:99], v[50:51], v[224:225]
	v_fmac_f64_e32 v[126:127], v[62:63], v[244:245]
	;; [unrolled: 3-line block ×3, first 2 shown]
	v_mul_f64 v[46:47], v[20:21], v[94:95]
	v_mul_f64 v[48:49], v[16:17], v[178:179]
	v_fmac_f64_e32 v[46:47], v[22:23], v[92:93]
	v_fmac_f64_e32 v[48:49], v[18:19], v[176:177]
	;; [unrolled: 1-line block ×3, first 2 shown]
	v_mul_f64 v[70:71], v[32:33], v[242:243]
	v_mul_f64 v[36:37], v[72:73], v[90:91]
	v_fmac_f64_e32 v[70:71], v[34:35], v[240:241]
	v_mul_f64 v[52:53], v[80:81], v[174:175]
	v_mul_f64 v[56:57], v[76:77], v[254:255]
	v_add_f64 v[32:33], v[140:141], -v[144:145]
	v_add_f64 v[34:35], v[152:153], -v[148:149]
	v_add_f64 v[76:77], v[140:141], -v[152:153]
	v_add_f64 v[80:81], v[142:143], -v[154:155]
	v_fmac_f64_e32 v[52:53], v[82:83], v[172:173]
	v_fmac_f64_e32 v[56:57], v[78:79], v[252:253]
	;; [unrolled: 1-line block ×3, first 2 shown]
	v_add_f64 v[74:75], v[32:33], v[34:35]
	v_add_f64 v[78:79], v[144:145], -v[148:149]
	v_add_f64 v[82:83], v[146:147], -v[150:151]
	v_cmp_lt_u16_e64 s[0:1], 21, v202
	v_accvgpr_write_b32 a193, v91
	v_accvgpr_write_b32 a192, v90
	v_accvgpr_write_b32 a191, v89
	v_accvgpr_write_b32 a190, v88
	v_accvgpr_write_b32 a189, v95
	v_accvgpr_write_b32 a188, v94
	v_accvgpr_write_b32 a187, v93
	v_accvgpr_write_b32 a186, v92
	v_add_f64 v[90:91], v[196:197], -v[190:191]
	v_add_f64 v[92:93], v[68:69], -v[70:71]
	;; [unrolled: 1-line block ×3, first 2 shown]
	v_add_f64 v[92:93], v[92:93], v[94:95]
	v_lshlrev_b32_e32 v211, 4, v211
	v_lshlrev_b32_e32 v136, 6, v184
	v_accvgpr_write_b32 a134, v212
	v_accvgpr_write_b32 a135, v213
	;; [unrolled: 1-line block ×34, first 2 shown]
	s_waitcnt vmcnt(0) lgkmcnt(0)
	v_mul_f64 v[4:5], v[2:3], v[8:9]
	v_mul_f64 v[42:43], v[0:1], v[8:9]
	v_accvgpr_write_b32 a213, v9
	v_fma_f64 v[54:55], v[0:1], v[6:7], -v[4:5]
	v_accvgpr_write_b32 a212, v8
	v_accvgpr_write_b32 a211, v7
	;; [unrolled: 1-line block ×3, first 2 shown]
	v_fmac_f64_e32 v[42:43], v[2:3], v[6:7]
	global_load_dwordx4 v[6:9], v[182:183], off offset:1168
	ds_read_b128 v[0:3], v180 offset:29920
	v_accvgpr_write_b32 a164, v242
	v_accvgpr_write_b32 a165, v243
	;; [unrolled: 1-line block ×26, first 2 shown]
	s_waitcnt vmcnt(0) lgkmcnt(0)
	v_mul_f64 v[4:5], v[2:3], v[8:9]
	v_mul_f64 v[50:51], v[0:1], v[8:9]
	v_fma_f64 v[62:63], v[0:1], v[6:7], -v[4:5]
	v_fmac_f64_e32 v[50:51], v[2:3], v[6:7]
	v_add_f64 v[0:1], v[24:25], v[142:143]
	v_add_f64 v[2:3], v[26:27], v[140:141]
	;; [unrolled: 1-line block ×6, first 2 shown]
	v_accvgpr_write_b32 a201, v9
	v_add_f64 v[28:29], v[0:1], v[154:155]
	v_add_f64 v[30:31], v[2:3], v[152:153]
	v_accvgpr_write_b32 a200, v8
	v_accvgpr_write_b32 a199, v7
	;; [unrolled: 1-line block ×3, first 2 shown]
	ds_read_b128 v[20:23], v180 offset:880
	ds_read_b128 v[16:19], v180 offset:1760
	;; [unrolled: 1-line block ×6, first 2 shown]
	s_waitcnt lgkmcnt(0)
	; wave barrier
	s_waitcnt lgkmcnt(0)
	ds_write_b128 v180, v[28:31]
	v_add_f64 v[28:29], v[142:143], -v[146:147]
	v_add_f64 v[30:31], v[154:155], -v[150:151]
	v_add_f64 v[72:73], v[28:29], v[30:31]
	v_add_f64 v[28:29], v[146:147], v[150:151]
	;; [unrolled: 1-line block ×3, first 2 shown]
	v_fma_f64 v[28:29], -0.5, v[28:29], v[24:25]
	v_fma_f64 v[30:31], -0.5, v[30:31], v[26:27]
	v_fma_f64 v[32:33], s[2:3], v[76:77], v[28:29]
	v_fma_f64 v[34:35], s[16:17], v[80:81], v[30:31]
	v_fmac_f64_e32 v[32:33], s[8:9], v[78:79]
	v_fmac_f64_e32 v[34:35], s[18:19], v[82:83]
	;; [unrolled: 1-line block ×4, first 2 shown]
	ds_write_b128 v180, v[32:35] offset:1232
	v_add_f64 v[32:33], v[142:143], v[154:155]
	v_fmac_f64_e32 v[24:25], -0.5, v[32:33]
	v_add_f64 v[32:33], v[146:147], -v[142:143]
	v_add_f64 v[34:35], v[150:151], -v[154:155]
	v_add_f64 v[142:143], v[32:33], v[34:35]
	v_add_f64 v[32:33], v[140:141], v[152:153]
	v_fmac_f64_e32 v[26:27], -0.5, v[32:33]
	v_add_f64 v[32:33], v[144:145], -v[140:141]
	v_add_f64 v[34:35], v[148:149], -v[152:153]
	v_add_f64 v[140:141], v[32:33], v[34:35]
	v_fma_f64 v[32:33], s[16:17], v[78:79], v[24:25]
	v_fma_f64 v[34:35], s[2:3], v[82:83], v[26:27]
	v_fmac_f64_e32 v[24:25], s[2:3], v[78:79]
	v_fmac_f64_e32 v[26:27], s[16:17], v[82:83]
	;; [unrolled: 1-line block ×10, first 2 shown]
	ds_write_b128 v180, v[24:27] offset:3696
	v_fmac_f64_e32 v[28:29], s[14:15], v[72:73]
	v_fmac_f64_e32 v[30:31], s[14:15], v[74:75]
	v_add_f64 v[24:25], v[20:21], v[158:159]
	v_add_f64 v[26:27], v[22:23], v[156:157]
	ds_write_b128 v180, v[28:31] offset:4928
	v_add_f64 v[24:25], v[24:25], v[164:165]
	v_add_f64 v[26:27], v[26:27], v[160:161]
	v_mov_b32_e32 v28, 0x181
	v_fmac_f64_e32 v[32:33], s[8:9], v[76:77]
	v_fmac_f64_e32 v[34:35], s[18:19], v[80:81]
	v_add_f64 v[24:25], v[24:25], v[166:167]
	v_add_f64 v[26:27], v[26:27], v[162:163]
	v_cndmask_b32_e64 v28, 0, v28, s[0:1]
	v_fmac_f64_e32 v[32:33], s[14:15], v[142:143]
	v_fmac_f64_e32 v[34:35], s[14:15], v[140:141]
	v_add_f64 v[24:25], v[24:25], v[170:171]
	v_add_f64 v[26:27], v[26:27], v[168:169]
	v_add_lshl_u32 v88, v102, v28, 4
	ds_write_b128 v180, v[32:35] offset:2464
	ds_write_b128 v88, v[24:27]
	v_add_f64 v[24:25], v[158:159], -v[164:165]
	v_add_f64 v[26:27], v[170:171], -v[166:167]
	v_add_f64 v[32:33], v[24:25], v[26:27]
	v_add_f64 v[24:25], v[164:165], v[166:167]
	;; [unrolled: 1-line block ×3, first 2 shown]
	v_fma_f64 v[24:25], -0.5, v[24:25], v[20:21]
	v_fma_f64 v[26:27], -0.5, v[26:27], v[22:23]
	v_add_f64 v[28:29], v[156:157], -v[160:161]
	v_add_f64 v[30:31], v[168:169], -v[162:163]
	;; [unrolled: 1-line block ×4, first 2 shown]
	v_add_f64 v[34:35], v[28:29], v[30:31]
	v_add_f64 v[74:75], v[160:161], -v[162:163]
	v_fma_f64 v[28:29], s[2:3], v[72:73], v[24:25]
	v_fma_f64 v[30:31], s[16:17], v[76:77], v[26:27]
	v_add_f64 v[78:79], v[164:165], -v[166:167]
	v_fmac_f64_e32 v[28:29], s[8:9], v[74:75]
	v_fmac_f64_e32 v[30:31], s[18:19], v[78:79]
	;; [unrolled: 1-line block ×4, first 2 shown]
	ds_write_b128 v88, v[28:31] offset:1232
	v_add_f64 v[28:29], v[158:159], v[170:171]
	v_fmac_f64_e32 v[20:21], -0.5, v[28:29]
	v_add_f64 v[28:29], v[164:165], -v[158:159]
	v_add_f64 v[30:31], v[166:167], -v[170:171]
	v_add_f64 v[80:81], v[28:29], v[30:31]
	v_add_f64 v[28:29], v[156:157], v[168:169]
	v_fmac_f64_e32 v[22:23], -0.5, v[28:29]
	v_add_f64 v[28:29], v[160:161], -v[156:157]
	v_add_f64 v[30:31], v[162:163], -v[168:169]
	v_add_f64 v[82:83], v[28:29], v[30:31]
	v_fma_f64 v[28:29], s[16:17], v[74:75], v[20:21]
	v_fma_f64 v[30:31], s[2:3], v[78:79], v[22:23]
	v_fmac_f64_e32 v[20:21], s[2:3], v[74:75]
	v_fmac_f64_e32 v[22:23], s[16:17], v[78:79]
	;; [unrolled: 1-line block ×8, first 2 shown]
	ds_write_b128 v88, v[20:23] offset:3696
	v_fmac_f64_e32 v[24:25], s[18:19], v[74:75]
	v_fmac_f64_e32 v[26:27], s[8:9], v[78:79]
	v_add_f64 v[20:21], v[16:17], v[130:131]
	v_add_f64 v[22:23], v[18:19], v[122:123]
	v_fmac_f64_e32 v[24:25], s[14:15], v[32:33]
	v_fmac_f64_e32 v[26:27], s[14:15], v[34:35]
	v_add_f64 v[20:21], v[20:21], v[132:133]
	v_add_f64 v[22:23], v[22:23], v[124:125]
	v_fmac_f64_e32 v[28:29], s[8:9], v[72:73]
	v_fmac_f64_e32 v[30:31], s[18:19], v[76:77]
	ds_write_b128 v88, v[24:27] offset:4928
	v_add_f64 v[20:21], v[20:21], v[134:135]
	v_add_f64 v[22:23], v[22:23], v[126:127]
	v_mul_u32_u24_e32 v24, 0x181, v185
	v_fmac_f64_e32 v[28:29], s[14:15], v[80:81]
	v_fmac_f64_e32 v[30:31], s[14:15], v[82:83]
	v_add_f64 v[20:21], v[20:21], v[138:139]
	v_add_f64 v[22:23], v[22:23], v[128:129]
	v_add_lshl_u32 v102, v24, v187, 4
	ds_write_b128 v88, v[28:31] offset:2464
	ds_write_b128 v102, v[20:23]
	v_add_f64 v[20:21], v[130:131], -v[132:133]
	v_add_f64 v[22:23], v[138:139], -v[134:135]
	v_add_f64 v[22:23], v[20:21], v[22:23]
	v_add_f64 v[20:21], v[132:133], v[134:135]
	v_fma_f64 v[20:21], -0.5, v[20:21], v[16:17]
	v_add_f64 v[26:27], v[122:123], -v[128:129]
	v_add_f64 v[28:29], v[124:125], -v[126:127]
	v_fma_f64 v[24:25], s[2:3], v[26:27], v[20:21]
	v_fmac_f64_e32 v[20:21], s[16:17], v[26:27]
	v_fmac_f64_e32 v[24:25], s[8:9], v[28:29]
	;; [unrolled: 1-line block ×5, first 2 shown]
	v_add_f64 v[22:23], v[130:131], v[138:139]
	v_fmac_f64_e32 v[16:17], -0.5, v[22:23]
	v_add_f64 v[22:23], v[132:133], -v[130:131]
	v_add_f64 v[30:31], v[134:135], -v[138:139]
	v_fma_f64 v[32:33], s[16:17], v[28:29], v[16:17]
	v_fmac_f64_e32 v[16:17], s[2:3], v[28:29]
	v_add_f64 v[22:23], v[22:23], v[30:31]
	v_fmac_f64_e32 v[32:33], s[8:9], v[26:27]
	v_fmac_f64_e32 v[16:17], s[18:19], v[26:27]
	;; [unrolled: 1-line block ×4, first 2 shown]
	v_add_f64 v[22:23], v[124:125], v[126:127]
	v_fma_f64 v[22:23], -0.5, v[22:23], v[18:19]
	v_add_f64 v[28:29], v[130:131], -v[138:139]
	v_add_f64 v[26:27], v[122:123], -v[124:125]
	v_add_f64 v[34:35], v[128:129], -v[126:127]
	v_add_f64 v[30:31], v[132:133], -v[134:135]
	v_add_f64 v[34:35], v[26:27], v[34:35]
	v_fma_f64 v[26:27], s[16:17], v[28:29], v[22:23]
	v_fmac_f64_e32 v[22:23], s[2:3], v[28:29]
	v_fmac_f64_e32 v[26:27], s[18:19], v[30:31]
	;; [unrolled: 1-line block ×5, first 2 shown]
	v_add_f64 v[34:35], v[122:123], v[128:129]
	v_fmac_f64_e32 v[18:19], -0.5, v[34:35]
	v_add_f64 v[34:35], v[124:125], -v[122:123]
	v_add_f64 v[72:73], v[126:127], -v[128:129]
	v_add_f64 v[72:73], v[34:35], v[72:73]
	v_fma_f64 v[34:35], s[2:3], v[30:31], v[18:19]
	v_fmac_f64_e32 v[18:19], s[16:17], v[30:31]
	v_fmac_f64_e32 v[34:35], s[18:19], v[28:29]
	v_fmac_f64_e32 v[18:19], s[8:9], v[28:29]
	v_add_f64 v[28:29], v[114:115], -v[116:117]
	v_add_f64 v[30:31], v[120:121], -v[118:119]
	v_add_f64 v[30:31], v[28:29], v[30:31]
	v_add_f64 v[28:29], v[116:117], v[118:119]
	v_fma_f64 v[28:29], -0.5, v[28:29], v[12:13]
	v_add_f64 v[74:75], v[96:97], -v[112:113]
	v_fmac_f64_e32 v[34:35], s[14:15], v[72:73]
	v_fmac_f64_e32 v[18:19], s[14:15], v[72:73]
	v_add_f64 v[78:79], v[98:99], -v[110:111]
	v_fma_f64 v[72:73], s[2:3], v[74:75], v[28:29]
	v_fmac_f64_e32 v[28:29], s[16:17], v[74:75]
	v_fmac_f64_e32 v[72:73], s[8:9], v[78:79]
	;; [unrolled: 1-line block ×3, first 2 shown]
	v_add_f64 v[76:77], v[114:115], v[120:121]
	v_fmac_f64_e32 v[72:73], s[14:15], v[30:31]
	v_fmac_f64_e32 v[28:29], s[14:15], v[30:31]
	v_add_f64 v[30:31], v[12:13], v[114:115]
	v_fmac_f64_e32 v[12:13], -0.5, v[76:77]
	v_add_f64 v[76:77], v[116:117], -v[114:115]
	v_add_f64 v[80:81], v[118:119], -v[120:121]
	v_add_f64 v[80:81], v[76:77], v[80:81]
	v_fma_f64 v[76:77], s[16:17], v[78:79], v[12:13]
	v_fmac_f64_e32 v[12:13], s[2:3], v[78:79]
	v_fmac_f64_e32 v[76:77], s[8:9], v[74:75]
	v_fmac_f64_e32 v[12:13], s[18:19], v[74:75]
	v_add_f64 v[30:31], v[30:31], v[116:117]
	v_add_f64 v[74:75], v[14:15], v[96:97]
	;; [unrolled: 1-line block ×4, first 2 shown]
	v_fmac_f64_e32 v[76:77], s[14:15], v[80:81]
	v_fmac_f64_e32 v[12:13], s[14:15], v[80:81]
	v_add_f64 v[74:75], v[74:75], v[110:111]
	v_add_f64 v[80:81], v[30:31], v[120:121]
	;; [unrolled: 1-line block ×4, first 2 shown]
	v_fma_f64 v[30:31], -0.5, v[30:31], v[14:15]
	v_add_f64 v[114:115], v[114:115], -v[120:121]
	v_add_f64 v[74:75], v[96:97], -v[98:99]
	;; [unrolled: 1-line block ×4, first 2 shown]
	v_add_f64 v[78:79], v[74:75], v[78:79]
	v_fma_f64 v[74:75], s[16:17], v[114:115], v[30:31]
	v_fmac_f64_e32 v[30:31], s[2:3], v[114:115]
	v_fmac_f64_e32 v[74:75], s[18:19], v[116:117]
	;; [unrolled: 1-line block ×5, first 2 shown]
	v_add_f64 v[78:79], v[96:97], v[112:113]
	v_fmac_f64_e32 v[14:15], -0.5, v[78:79]
	v_add_f64 v[78:79], v[98:99], -v[96:97]
	v_add_f64 v[96:97], v[110:111], -v[112:113]
	v_add_f64 v[96:97], v[78:79], v[96:97]
	v_fma_f64 v[78:79], s[2:3], v[116:117], v[14:15]
	v_fmac_f64_e32 v[14:15], s[16:17], v[116:117]
	v_fmac_f64_e32 v[78:79], s[18:19], v[114:115]
	;; [unrolled: 1-line block ×5, first 2 shown]
	v_add_f64 v[96:97], v[194:195], -v[196:197]
	v_add_f64 v[98:99], v[192:193], -v[190:191]
	v_add_f64 v[98:99], v[96:97], v[98:99]
	v_add_f64 v[96:97], v[196:197], v[190:191]
	v_fma_f64 v[96:97], -0.5, v[96:97], v[8:9]
	v_add_f64 v[112:113], v[68:69], -v[86:87]
	v_add_f64 v[116:117], v[70:71], -v[84:85]
	v_fma_f64 v[110:111], s[2:3], v[112:113], v[96:97]
	v_fmac_f64_e32 v[96:97], s[16:17], v[112:113]
	v_fmac_f64_e32 v[110:111], s[8:9], v[116:117]
	;; [unrolled: 1-line block ×3, first 2 shown]
	v_add_f64 v[114:115], v[194:195], v[192:193]
	v_fmac_f64_e32 v[110:111], s[14:15], v[98:99]
	v_fmac_f64_e32 v[96:97], s[14:15], v[98:99]
	v_add_f64 v[98:99], v[8:9], v[194:195]
	v_fmac_f64_e32 v[8:9], -0.5, v[114:115]
	v_add_f64 v[114:115], v[196:197], -v[194:195]
	v_add_f64 v[118:119], v[190:191], -v[192:193]
	v_add_f64 v[118:119], v[114:115], v[118:119]
	v_fma_f64 v[114:115], s[16:17], v[116:117], v[8:9]
	v_fmac_f64_e32 v[8:9], s[2:3], v[116:117]
	v_add_f64 v[98:99], v[98:99], v[196:197]
	v_fmac_f64_e32 v[114:115], s[8:9], v[112:113]
	v_fmac_f64_e32 v[8:9], s[18:19], v[112:113]
	v_add_f64 v[98:99], v[98:99], v[190:191]
	v_add_f64 v[112:113], v[10:11], v[68:69]
	v_fmac_f64_e32 v[114:115], s[14:15], v[118:119]
	v_fmac_f64_e32 v[8:9], s[14:15], v[118:119]
	v_add_f64 v[112:113], v[112:113], v[70:71]
	v_add_f64 v[118:119], v[98:99], v[192:193]
	v_add_f64 v[98:99], v[70:71], v[84:85]
	v_accvgpr_write_b32 a41, v88
	v_add_f64 v[112:113], v[112:113], v[84:85]
	v_fma_f64 v[98:99], -0.5, v[98:99], v[10:11]
	v_add_f64 v[88:89], v[194:195], -v[192:193]
	v_add_f64 v[120:121], v[112:113], v[86:87]
	v_fma_f64 v[112:113], s[16:17], v[88:89], v[98:99]
	v_fmac_f64_e32 v[98:99], s[2:3], v[88:89]
	v_fmac_f64_e32 v[112:113], s[18:19], v[90:91]
	;; [unrolled: 1-line block ×5, first 2 shown]
	v_add_f64 v[92:93], v[68:69], v[86:87]
	v_fmac_f64_e32 v[10:11], -0.5, v[92:93]
	v_add_f64 v[68:69], v[70:71], -v[68:69]
	v_add_f64 v[70:71], v[84:85], -v[86:87]
	v_fma_f64 v[116:117], s[2:3], v[90:91], v[10:11]
	v_fmac_f64_e32 v[10:11], s[16:17], v[90:91]
	v_add_f64 v[68:69], v[68:69], v[70:71]
	v_fmac_f64_e32 v[116:117], s[18:19], v[88:89]
	v_fmac_f64_e32 v[10:11], s[8:9], v[88:89]
	v_fmac_f64_e32 v[116:117], s[14:15], v[68:69]
	v_fmac_f64_e32 v[10:11], s[14:15], v[68:69]
	v_add_f64 v[68:69], v[58:59], -v[60:61]
	v_add_f64 v[70:71], v[66:67], -v[64:65]
	v_add_f64 v[70:71], v[68:69], v[70:71]
	v_add_f64 v[68:69], v[60:61], v[64:65]
	v_fma_f64 v[68:69], -0.5, v[68:69], v[4:5]
	v_add_f64 v[86:87], v[46:47], -v[56:57]
	v_add_f64 v[90:91], v[48:49], -v[52:53]
	v_fma_f64 v[84:85], s[2:3], v[86:87], v[68:69]
	v_fmac_f64_e32 v[68:69], s[16:17], v[86:87]
	v_fmac_f64_e32 v[84:85], s[8:9], v[90:91]
	;; [unrolled: 1-line block ×3, first 2 shown]
	v_add_f64 v[88:89], v[58:59], v[66:67]
	v_fmac_f64_e32 v[84:85], s[14:15], v[70:71]
	v_fmac_f64_e32 v[68:69], s[14:15], v[70:71]
	v_add_f64 v[70:71], v[4:5], v[58:59]
	v_fmac_f64_e32 v[4:5], -0.5, v[88:89]
	v_add_f64 v[88:89], v[60:61], -v[58:59]
	v_add_f64 v[92:93], v[64:65], -v[66:67]
	v_add_f64 v[92:93], v[88:89], v[92:93]
	v_fma_f64 v[88:89], s[16:17], v[90:91], v[4:5]
	v_fmac_f64_e32 v[4:5], s[2:3], v[90:91]
	v_add_f64 v[70:71], v[70:71], v[60:61]
	v_fmac_f64_e32 v[88:89], s[8:9], v[86:87]
	v_fmac_f64_e32 v[4:5], s[18:19], v[86:87]
	v_add_f64 v[70:71], v[70:71], v[64:65]
	v_add_f64 v[86:87], v[6:7], v[46:47]
	v_fmac_f64_e32 v[88:89], s[14:15], v[92:93]
	v_fmac_f64_e32 v[4:5], s[14:15], v[92:93]
	v_add_f64 v[86:87], v[86:87], v[48:49]
	v_add_f64 v[92:93], v[70:71], v[66:67]
	;; [unrolled: 1-line block ×4, first 2 shown]
	v_fma_f64 v[70:71], -0.5, v[70:71], v[6:7]
	v_add_f64 v[58:59], v[58:59], -v[66:67]
	v_add_f64 v[94:95], v[86:87], v[56:57]
	v_add_f64 v[60:61], v[60:61], -v[64:65]
	v_add_f64 v[64:65], v[46:47], -v[48:49]
	;; [unrolled: 1-line block ×3, first 2 shown]
	v_fma_f64 v[86:87], s[16:17], v[58:59], v[70:71]
	v_fmac_f64_e32 v[70:71], s[2:3], v[58:59]
	v_add_f64 v[64:65], v[64:65], v[66:67]
	v_fmac_f64_e32 v[86:87], s[18:19], v[60:61]
	v_fmac_f64_e32 v[70:71], s[8:9], v[60:61]
	;; [unrolled: 1-line block ×4, first 2 shown]
	v_add_f64 v[64:65], v[46:47], v[56:57]
	v_fmac_f64_e32 v[6:7], -0.5, v[64:65]
	v_add_f64 v[46:47], v[48:49], -v[46:47]
	v_add_f64 v[48:49], v[52:53], -v[56:57]
	v_fma_f64 v[90:91], s[2:3], v[60:61], v[6:7]
	v_fmac_f64_e32 v[6:7], s[16:17], v[60:61]
	v_add_f64 v[46:47], v[46:47], v[48:49]
	v_fmac_f64_e32 v[90:91], s[18:19], v[58:59]
	v_fmac_f64_e32 v[6:7], s[8:9], v[58:59]
	v_fmac_f64_e32 v[90:91], s[14:15], v[46:47]
	v_fmac_f64_e32 v[6:7], s[14:15], v[46:47]
	v_add_f64 v[46:47], v[40:41], -v[44:45]
	v_add_f64 v[48:49], v[62:63], -v[54:55]
	v_add_f64 v[48:49], v[46:47], v[48:49]
	v_add_f64 v[46:47], v[44:45], v[54:55]
	v_fma_f64 v[46:47], -0.5, v[46:47], v[0:1]
	v_add_f64 v[58:59], v[36:37], -v[50:51]
	v_add_f64 v[60:61], v[38:39], -v[42:43]
	v_fma_f64 v[52:53], s[2:3], v[58:59], v[46:47]
	v_fmac_f64_e32 v[46:47], s[16:17], v[58:59]
	v_fmac_f64_e32 v[52:53], s[8:9], v[60:61]
	;; [unrolled: 1-line block ×3, first 2 shown]
	v_add_f64 v[56:57], v[40:41], v[62:63]
	v_fmac_f64_e32 v[52:53], s[14:15], v[48:49]
	v_fmac_f64_e32 v[46:47], s[14:15], v[48:49]
	v_add_f64 v[48:49], v[0:1], v[40:41]
	v_fmac_f64_e32 v[0:1], -0.5, v[56:57]
	v_add_f64 v[56:57], v[44:45], -v[40:41]
	v_add_f64 v[64:65], v[54:55], -v[62:63]
	v_add_f64 v[64:65], v[56:57], v[64:65]
	v_fma_f64 v[56:57], s[16:17], v[60:61], v[0:1]
	v_fmac_f64_e32 v[0:1], s[2:3], v[60:61]
	v_fmac_f64_e32 v[56:57], s[8:9], v[58:59]
	;; [unrolled: 1-line block ×3, first 2 shown]
	v_add_f64 v[48:49], v[48:49], v[44:45]
	v_add_f64 v[58:59], v[2:3], v[36:37]
	v_add_f64 v[48:49], v[48:49], v[54:55]
	v_add_f64 v[58:59], v[58:59], v[38:39]
	v_fmac_f64_e32 v[56:57], s[14:15], v[64:65]
	v_fmac_f64_e32 v[0:1], s[14:15], v[64:65]
	v_add_f64 v[58:59], v[58:59], v[42:43]
	v_add_f64 v[64:65], v[48:49], v[62:63]
	;; [unrolled: 1-line block ×4, first 2 shown]
	v_fma_f64 v[48:49], -0.5, v[48:49], v[2:3]
	v_add_f64 v[40:41], v[40:41], -v[62:63]
	v_add_f64 v[44:45], v[44:45], -v[54:55]
	;; [unrolled: 1-line block ×4, first 2 shown]
	v_add_f64 v[58:59], v[54:55], v[58:59]
	v_fma_f64 v[54:55], s[16:17], v[40:41], v[48:49]
	v_fmac_f64_e32 v[48:49], s[2:3], v[40:41]
	ds_write_b128 v102, v[24:27] offset:1232
	ds_write_b128 v102, v[32:35] offset:2464
	;; [unrolled: 1-line block ×3, first 2 shown]
	v_mov_b32_e32 v16, 4
	v_fmac_f64_e32 v[54:55], s[18:19], v[44:45]
	v_fmac_f64_e32 v[48:49], s[8:9], v[44:45]
	s_movk_i32 s0, 0x181
	v_lshlrev_b32_sdwa v16, v16, v109 dst_sel:DWORD dst_unused:UNUSED_PAD src0_sel:DWORD src1_sel:BYTE_0
	v_fmac_f64_e32 v[54:55], s[14:15], v[58:59]
	v_fmac_f64_e32 v[48:49], s[14:15], v[58:59]
	v_add_f64 v[58:59], v[36:37], v[50:51]
	ds_write_b128 v102, v[20:23] offset:4928
	ds_write_b128 v16, v[80:83] offset:12320
	;; [unrolled: 1-line block ×5, first 2 shown]
	v_mad_legacy_u16 v12, v103, s0, v107
	v_fmac_f64_e32 v[2:3], -0.5, v[58:59]
	v_lshlrev_b32_e32 v12, 4, v12
	v_add_f64 v[36:37], v[38:39], -v[36:37]
	v_add_f64 v[38:39], v[42:43], -v[50:51]
	v_fma_f64 v[58:59], s[2:3], v[44:45], v[2:3]
	v_fmac_f64_e32 v[2:3], s[16:17], v[44:45]
	ds_write_b128 v16, v[28:31] offset:17248
	ds_write_b128 v12, v[118:121]
	ds_write_b128 v12, v[110:113] offset:1232
	ds_write_b128 v12, v[114:117] offset:2464
	;; [unrolled: 1-line block ×3, first 2 shown]
	v_mad_legacy_u16 v8, v189, s0, v203
	v_add_f64 v[36:37], v[36:37], v[38:39]
	v_fmac_f64_e32 v[58:59], s[18:19], v[40:41]
	v_fmac_f64_e32 v[2:3], s[8:9], v[40:41]
	v_lshlrev_b32_e32 v8, 4, v8
	v_fmac_f64_e32 v[58:59], s[14:15], v[36:37]
	v_fmac_f64_e32 v[2:3], s[14:15], v[36:37]
	ds_write_b128 v12, v[96:99] offset:4928
	ds_write_b128 v8, v[92:95]
	ds_write_b128 v8, v[84:87] offset:1232
	ds_write_b128 v8, v[88:91] offset:2464
	;; [unrolled: 1-line block ×9, first 2 shown]
	v_add_co_u32_e64 v0, s[0:1], s22, v100
	s_waitcnt lgkmcnt(0)
	s_nop 0
	v_addc_co_u32_e64 v1, s[0:1], 0, v101, s[0:1]
	; wave barrier
	global_load_dwordx4 v[56:59], v[0:1], off offset:1952
	v_lshl_add_u64 v[0:1], v[100:101], 0, s[20:21]
	global_load_dwordx4 v[64:67], v[0:1], off offset:16
	global_load_dwordx4 v[60:63], v[0:1], off offset:32
	global_load_dwordx4 v[52:55], v[0:1], off offset:48
	v_lshl_add_u64 v[0:1], s[10:11], 0, v[136:137]
	v_add_co_u32_e64 v2, s[0:1], s22, v0
	v_lshlrev_b32_e32 v136, 6, v186
	s_nop 0
	v_addc_co_u32_e64 v3, s[0:1], 0, v1, s[0:1]
	global_load_dwordx4 v[68:71], v[2:3], off offset:1952
	v_lshl_add_u64 v[0:1], v[0:1], 0, s[20:21]
	global_load_dwordx4 v[80:83], v[0:1], off offset:16
	global_load_dwordx4 v[76:79], v[0:1], off offset:32
	;; [unrolled: 1-line block ×3, first 2 shown]
	v_lshl_add_u64 v[0:1], s[10:11], 0, v[136:137]
	v_add_co_u32_e64 v2, s[0:1], s22, v0
	v_lshlrev_b32_e32 v136, 6, v210
	s_nop 0
	v_addc_co_u32_e64 v3, s[0:1], 0, v1, s[0:1]
	global_load_dwordx4 v[88:91], v[2:3], off offset:1952
	v_lshl_add_u64 v[0:1], v[0:1], 0, s[20:21]
	global_load_dwordx4 v[96:99], v[0:1], off offset:16
	global_load_dwordx4 v[92:95], v[0:1], off offset:32
	;; [unrolled: 1-line block ×3, first 2 shown]
	v_lshl_add_u64 v[48:49], s[10:11], 0, v[136:137]
	v_add_co_u32_e64 v0, s[0:1], s22, v48
	v_accvgpr_write_b32 a231, v102
	s_nop 0
	v_addc_co_u32_e64 v1, s[0:1], 0, v49, s[0:1]
	global_load_dwordx4 v[100:103], v[0:1], off offset:1952
	v_accvgpr_write_b32 a249, v16
	v_accvgpr_write_b32 a255, v12
	;; [unrolled: 1-line block ×3, first 2 shown]
	ds_read_b128 v[0:3], v180 offset:6160
	ds_read_b128 v[4:7], v180 offset:12320
	;; [unrolled: 1-line block ×12, first 2 shown]
	v_lshlrev_b32_e32 v136, 6, v188
	s_waitcnt vmcnt(12) lgkmcnt(11)
	v_mul_f64 v[50:51], v[2:3], v[58:59]
	v_fma_f64 v[154:155], v[0:1], v[56:57], -v[50:51]
	v_mul_f64 v[152:153], v[0:1], v[58:59]
	s_waitcnt vmcnt(11) lgkmcnt(10)
	v_mul_f64 v[0:1], v[6:7], v[66:67]
	v_fma_f64 v[160:161], v[4:5], v[64:65], -v[0:1]
	s_waitcnt vmcnt(10) lgkmcnt(9)
	v_mul_f64 v[0:1], v[10:11], v[62:63]
	v_fma_f64 v[162:163], v[8:9], v[60:61], -v[0:1]
	;; [unrolled: 3-line block ×7, first 2 shown]
	v_fmac_f64_e32 v[152:153], v[2:3], v[56:57]
	s_waitcnt vmcnt(4) lgkmcnt(3)
	v_mul_f64 v[0:1], v[34:35], v[90:91]
	v_fma_f64 v[120:121], v[32:33], v[88:89], -v[0:1]
	s_waitcnt vmcnt(3) lgkmcnt(2)
	v_mul_f64 v[0:1], v[38:39], v[98:99]
	v_fma_f64 v[126:127], v[36:37], v[96:97], -v[0:1]
	;; [unrolled: 3-line block ×4, first 2 shown]
	ds_read_b128 v[0:3], v180 offset:8800
	v_mul_f64 v[156:157], v[4:5], v[66:67]
	v_accvgpr_write_b32 a0, v92
	v_mul_f64 v[124:125], v[40:41], v[94:95]
	v_accvgpr_write_b32 a1, v93
	s_waitcnt vmcnt(0) lgkmcnt(0)
	v_mul_f64 v[4:5], v[2:3], v[102:103]
	v_accvgpr_write_b32 a2, v94
	v_accvgpr_write_b32 a3, v95
	v_fma_f64 v[94:95], v[0:1], v[100:101], -v[4:5]
	v_lshl_add_u64 v[4:5], v[48:49], 0, s[20:21]
	global_load_dwordx4 v[212:215], v[4:5], off offset:16
	v_mul_f64 v[158:159], v[8:9], v[62:63]
	v_fmac_f64_e32 v[158:159], v[10:11], v[60:61]
	global_load_dwordx4 v[8:11], v[4:5], off offset:32
	global_load_dwordx4 v[216:219], v[4:5], off offset:48
	v_fmac_f64_e32 v[124:125], v[42:43], v[92:93]
	v_mul_f64 v[92:93], v[0:1], v[102:103]
	v_fmac_f64_e32 v[92:93], v[2:3], v[100:101]
	ds_read_b128 v[0:3], v180 offset:14960
	v_mul_f64 v[122:123], v[36:37], v[98:99]
	v_accvgpr_write_b32 a253, v99
	v_fmac_f64_e32 v[156:157], v[6:7], v[64:65]
	v_accvgpr_write_b32 a252, v98
	v_accvgpr_write_b32 a251, v97
	v_accvgpr_write_b32 a250, v96
	v_fmac_f64_e32 v[122:123], v[38:39], v[96:97]
	v_mul_f64 v[134:135], v[16:17], v[70:71]
	v_accvgpr_write_b32 a225, v71
	v_accvgpr_write_b32 a224, v70
	v_accvgpr_write_b32 a223, v69
	v_accvgpr_write_b32 a222, v68
	v_fmac_f64_e32 v[134:135], v[18:19], v[68:69]
	v_mul_f64 v[148:149], v[28:29], v[74:75]
	v_accvgpr_write_b32 a243, v75
	;; [unrolled: 6-line block ×3, first 2 shown]
	v_accvgpr_write_b32 a238, v78
	v_accvgpr_write_b32 a237, v77
	;; [unrolled: 1-line block ×3, first 2 shown]
	v_fmac_f64_e32 v[142:143], v[26:27], v[76:77]
	v_accvgpr_write_b32 a229, v87
	v_mul_f64 v[130:131], v[44:45], v[86:87]
	v_accvgpr_write_b32 a228, v86
	v_accvgpr_write_b32 a227, v85
	;; [unrolled: 1-line block ×3, first 2 shown]
	v_fmac_f64_e32 v[130:131], v[46:47], v[84:85]
	v_mul_f64 v[164:165], v[12:13], v[54:55]
	v_mul_f64 v[140:141], v[20:21], v[82:83]
	v_fmac_f64_e32 v[140:141], v[22:23], v[80:81]
	v_fmac_f64_e32 v[164:165], v[14:15], v[52:53]
	v_mul_f64 v[118:119], v[32:33], v[90:91]
	v_fmac_f64_e32 v[118:119], v[34:35], v[88:89]
	v_accvgpr_write_b32 a205, v59
	v_accvgpr_write_b32 a204, v58
	;; [unrolled: 1-line block ×16, first 2 shown]
	v_add_f64 v[52:53], v[152:153], -v[156:157]
	v_add_f64 v[54:55], v[164:165], -v[158:159]
	;; [unrolled: 1-line block ×4, first 2 shown]
	v_add_f64 v[58:59], v[52:53], v[54:55]
	v_add_f64 v[62:63], v[156:157], -v[158:159]
	v_add_f64 v[66:67], v[160:161], -v[162:163]
	v_accvgpr_write_b32 a235, v83
	v_accvgpr_write_b32 a234, v82
	;; [unrolled: 1-line block ×11, first 2 shown]
	s_waitcnt vmcnt(2) lgkmcnt(0)
	v_mul_f64 v[6:7], v[2:3], v[214:215]
	v_mul_f64 v[96:97], v[0:1], v[214:215]
	v_fma_f64 v[98:99], v[0:1], v[212:213], -v[6:7]
	v_fmac_f64_e32 v[96:97], v[2:3], v[212:213]
	ds_read_b128 v[0:3], v180 offset:21120
	s_waitcnt vmcnt(1)
	v_accvgpr_write_b32 a15, v11
	v_accvgpr_write_b32 a14, v10
	;; [unrolled: 1-line block ×4, first 2 shown]
	s_waitcnt lgkmcnt(0)
	v_mul_f64 v[6:7], v[2:3], v[10:11]
	v_mul_f64 v[110:111], v[0:1], v[10:11]
	v_fma_f64 v[112:113], v[0:1], v[8:9], -v[6:7]
	v_fmac_f64_e32 v[110:111], v[2:3], v[8:9]
	ds_read_b128 v[0:3], v180 offset:27280
	v_accvgpr_write_b32 a244, v100
	s_waitcnt vmcnt(0) lgkmcnt(0)
	v_mul_f64 v[4:5], v[2:3], v[218:219]
	v_fma_f64 v[116:117], v[0:1], v[216:217], -v[4:5]
	v_lshl_add_u64 v[4:5], s[10:11], 0, v[136:137]
	v_mul_f64 v[114:115], v[0:1], v[218:219]
	v_add_co_u32_e64 v0, s[0:1], s22, v4
	v_fmac_f64_e32 v[114:115], v[2:3], v[216:217]
	s_nop 0
	v_addc_co_u32_e64 v1, s[0:1], 0, v5, s[0:1]
	global_load_dwordx4 v[220:223], v[0:1], off offset:1952
	v_lshl_add_u64 v[4:5], v[4:5], 0, s[20:21]
	global_load_dwordx4 v[224:227], v[4:5], off offset:16
	global_load_dwordx4 v[232:235], v[4:5], off offset:32
	;; [unrolled: 1-line block ×3, first 2 shown]
	ds_read_b128 v[0:3], v180 offset:9680
	v_lshlrev_b32_e32 v136, 6, v108
	s_waitcnt vmcnt(3) lgkmcnt(0)
	v_mul_f64 v[6:7], v[2:3], v[222:223]
	v_mul_f64 v[68:69], v[0:1], v[222:223]
	v_fma_f64 v[70:71], v[0:1], v[220:221], -v[6:7]
	v_fmac_f64_e32 v[68:69], v[2:3], v[220:221]
	ds_read_b128 v[0:3], v180 offset:15840
	s_waitcnt vmcnt(2) lgkmcnt(0)
	v_mul_f64 v[6:7], v[2:3], v[226:227]
	v_mul_f64 v[72:73], v[0:1], v[226:227]
	v_fma_f64 v[74:75], v[0:1], v[224:225], -v[6:7]
	v_fmac_f64_e32 v[72:73], v[2:3], v[224:225]
	ds_read_b128 v[0:3], v180 offset:22000
	;; [unrolled: 6-line block ×3, first 2 shown]
	s_waitcnt vmcnt(0) lgkmcnt(0)
	v_mul_f64 v[4:5], v[2:3], v[230:231]
	v_fma_f64 v[86:87], v[0:1], v[228:229], -v[4:5]
	v_lshl_add_u64 v[4:5], s[10:11], 0, v[136:137]
	v_mul_f64 v[84:85], v[0:1], v[230:231]
	v_add_co_u32_e64 v0, s[0:1], s22, v4
	v_fmac_f64_e32 v[84:85], v[2:3], v[228:229]
	s_nop 0
	v_addc_co_u32_e64 v1, s[0:1], 0, v5, s[0:1]
	global_load_dwordx4 v[236:239], v[0:1], off offset:1952
	v_lshl_add_u64 v[4:5], v[4:5], 0, s[20:21]
	global_load_dwordx4 v[244:247], v[4:5], off offset:16
	global_load_dwordx4 v[240:243], v[4:5], off offset:32
	;; [unrolled: 1-line block ×3, first 2 shown]
	ds_read_b128 v[0:3], v180 offset:10560
	v_lshlrev_b32_e32 v136, 6, v106
	s_waitcnt vmcnt(3) lgkmcnt(0)
	v_mul_f64 v[6:7], v[2:3], v[238:239]
	v_mul_f64 v[36:37], v[0:1], v[238:239]
	v_fma_f64 v[38:39], v[0:1], v[236:237], -v[6:7]
	v_fmac_f64_e32 v[36:37], v[2:3], v[236:237]
	ds_read_b128 v[0:3], v180 offset:16720
	s_waitcnt vmcnt(2) lgkmcnt(0)
	v_mul_f64 v[6:7], v[2:3], v[246:247]
	v_mul_f64 v[40:41], v[0:1], v[246:247]
	v_fma_f64 v[42:43], v[0:1], v[244:245], -v[6:7]
	v_fmac_f64_e32 v[40:41], v[2:3], v[244:245]
	ds_read_b128 v[0:3], v180 offset:22880
	;; [unrolled: 6-line block ×3, first 2 shown]
	s_waitcnt vmcnt(0) lgkmcnt(0)
	v_mul_f64 v[4:5], v[2:3], v[250:251]
	v_fma_f64 v[50:51], v[0:1], v[248:249], -v[4:5]
	v_lshl_add_u64 v[4:5], s[10:11], 0, v[136:137]
	v_mul_f64 v[48:49], v[0:1], v[250:251]
	v_add_co_u32_e64 v0, s[0:1], s22, v4
	v_fmac_f64_e32 v[48:49], v[2:3], v[248:249]
	s_nop 0
	v_addc_co_u32_e64 v1, s[0:1], 0, v5, s[0:1]
	global_load_dwordx4 v[252:255], v[0:1], off offset:1952
	ds_read_b128 v[0:3], v180 offset:11440
	v_lshl_add_u64 v[12:13], v[4:5], 0, s[20:21]
	s_movk_i32 s0, 0x7000
	s_mov_b32 s20, 0x37e14327
	s_mov_b32 s21, 0x3fe948f6
	;; [unrolled: 1-line block ×5, first 2 shown]
	s_waitcnt vmcnt(0) lgkmcnt(0)
	v_mul_f64 v[6:7], v[2:3], v[254:255]
	v_mul_f64 v[20:21], v[0:1], v[254:255]
	v_fma_f64 v[22:23], v[0:1], v[252:253], -v[6:7]
	v_fmac_f64_e32 v[20:21], v[2:3], v[252:253]
	global_load_dwordx4 v[0:3], v[12:13], off offset:16
	ds_read_b128 v[4:7], v180 offset:17600
	s_waitcnt vmcnt(0) lgkmcnt(0)
	v_mul_f64 v[8:9], v[6:7], v[2:3]
	v_mul_f64 v[24:25], v[4:5], v[2:3]
	v_fma_f64 v[26:27], v[4:5], v[0:1], -v[8:9]
	v_fmac_f64_e32 v[24:25], v[6:7], v[0:1]
	global_load_dwordx4 v[4:7], v[12:13], off offset:32
	ds_read_b128 v[8:11], v180 offset:23760
	;; [unrolled: 7-line block ×3, first 2 shown]
	s_waitcnt vmcnt(0) lgkmcnt(0)
	v_mul_f64 v[16:17], v[14:15], v[10:11]
	v_mul_f64 v[32:33], v[12:13], v[10:11]
	v_fma_f64 v[34:35], v[12:13], v[8:9], -v[16:17]
	v_fmac_f64_e32 v[32:33], v[14:15], v[8:9]
	ds_read_b128 v[12:15], v180
	s_waitcnt lgkmcnt(0)
	v_add_f64 v[16:17], v[12:13], v[154:155]
	v_add_f64 v[18:19], v[14:15], v[152:153]
	;; [unrolled: 1-line block ×8, first 2 shown]
	ds_write_b128 v180, v[16:19]
	v_add_f64 v[16:17], v[154:155], -v[160:161]
	v_add_f64 v[18:19], v[166:167], -v[162:163]
	v_add_f64 v[56:57], v[16:17], v[18:19]
	v_add_f64 v[16:17], v[160:161], v[162:163]
	;; [unrolled: 1-line block ×3, first 2 shown]
	v_fma_f64 v[16:17], -0.5, v[16:17], v[12:13]
	v_fma_f64 v[18:19], -0.5, v[18:19], v[14:15]
	v_fma_f64 v[52:53], s[2:3], v[60:61], v[16:17]
	v_fma_f64 v[54:55], s[16:17], v[64:65], v[18:19]
	v_fmac_f64_e32 v[52:53], s[8:9], v[62:63]
	v_fmac_f64_e32 v[54:55], s[18:19], v[66:67]
	v_fmac_f64_e32 v[52:53], s[14:15], v[56:57]
	v_fmac_f64_e32 v[54:55], s[14:15], v[58:59]
	ds_write_b128 v180, v[52:55] offset:6160
	v_add_f64 v[52:53], v[154:155], v[166:167]
	v_fmac_f64_e32 v[12:13], -0.5, v[52:53]
	v_add_f64 v[52:53], v[160:161], -v[154:155]
	v_add_f64 v[54:55], v[162:163], -v[166:167]
	v_add_f64 v[80:81], v[52:53], v[54:55]
	v_add_f64 v[52:53], v[152:153], v[164:165]
	v_fmac_f64_e32 v[14:15], -0.5, v[52:53]
	v_add_f64 v[52:53], v[156:157], -v[152:153]
	v_add_f64 v[54:55], v[158:159], -v[164:165]
	v_add_f64 v[82:83], v[52:53], v[54:55]
	v_fma_f64 v[52:53], s[16:17], v[62:63], v[12:13]
	v_fma_f64 v[54:55], s[2:3], v[66:67], v[14:15]
	v_fmac_f64_e32 v[12:13], s[2:3], v[62:63]
	v_fmac_f64_e32 v[14:15], s[16:17], v[66:67]
	v_fmac_f64_e32 v[12:13], s[18:19], v[60:61]
	v_fmac_f64_e32 v[14:15], s[8:9], v[64:65]
	v_fmac_f64_e32 v[12:13], s[14:15], v[80:81]
	v_fmac_f64_e32 v[14:15], s[14:15], v[82:83]
	ds_write_b128 v180, v[12:15] offset:18480
	ds_read_b128 v[12:15], v180 offset:880
	v_fmac_f64_e32 v[16:17], s[16:17], v[60:61]
	v_fmac_f64_e32 v[18:19], s[2:3], v[64:65]
	v_fmac_f64_e32 v[16:17], s[18:19], v[62:63]
	v_fmac_f64_e32 v[18:19], s[8:9], v[66:67]
	v_fmac_f64_e32 v[16:17], s[14:15], v[56:57]
	v_fmac_f64_e32 v[18:19], s[14:15], v[58:59]
	ds_write_b128 v180, v[16:19] offset:24640
	s_waitcnt lgkmcnt(1)
	v_add_f64 v[16:17], v[12:13], v[138:139]
	v_add_f64 v[18:19], v[14:15], v[134:135]
	v_add_f64 v[16:17], v[16:17], v[144:145]
	v_add_f64 v[18:19], v[18:19], v[140:141]
	v_add_f64 v[16:17], v[16:17], v[146:147]
	v_add_f64 v[18:19], v[18:19], v[142:143]
	v_add_f64 v[16:17], v[16:17], v[150:151]
	v_add_f64 v[18:19], v[18:19], v[148:149]
	v_fmac_f64_e32 v[52:53], s[8:9], v[60:61]
	v_fmac_f64_e32 v[54:55], s[18:19], v[64:65]
	ds_write_b128 v180, v[16:19] offset:880
	v_add_f64 v[16:17], v[138:139], -v[144:145]
	v_add_f64 v[18:19], v[150:151], -v[146:147]
	v_fmac_f64_e32 v[52:53], s[14:15], v[80:81]
	v_fmac_f64_e32 v[54:55], s[14:15], v[82:83]
	v_add_f64 v[56:57], v[16:17], v[18:19]
	v_add_f64 v[16:17], v[144:145], v[146:147]
	v_add_f64 v[18:19], v[140:141], v[142:143]
	ds_write_b128 v180, v[52:55] offset:12320
	v_fma_f64 v[16:17], -0.5, v[16:17], v[12:13]
	v_fma_f64 v[18:19], -0.5, v[18:19], v[14:15]
	v_add_f64 v[52:53], v[134:135], -v[140:141]
	v_add_f64 v[54:55], v[148:149], -v[142:143]
	v_add_f64 v[60:61], v[134:135], -v[148:149]
	v_add_f64 v[64:65], v[138:139], -v[150:151]
	v_add_f64 v[58:59], v[52:53], v[54:55]
	v_add_f64 v[62:63], v[140:141], -v[142:143]
	v_fma_f64 v[52:53], s[2:3], v[60:61], v[16:17]
	v_fma_f64 v[54:55], s[16:17], v[64:65], v[18:19]
	v_add_f64 v[66:67], v[144:145], -v[146:147]
	v_fmac_f64_e32 v[52:53], s[8:9], v[62:63]
	v_fmac_f64_e32 v[54:55], s[18:19], v[66:67]
	v_fmac_f64_e32 v[52:53], s[14:15], v[56:57]
	v_fmac_f64_e32 v[54:55], s[14:15], v[58:59]
	ds_write_b128 v180, v[52:55] offset:7040
	v_add_f64 v[52:53], v[138:139], v[150:151]
	v_fmac_f64_e32 v[12:13], -0.5, v[52:53]
	v_add_f64 v[52:53], v[144:145], -v[138:139]
	v_add_f64 v[54:55], v[146:147], -v[150:151]
	v_add_f64 v[80:81], v[52:53], v[54:55]
	v_add_f64 v[52:53], v[134:135], v[148:149]
	v_fmac_f64_e32 v[14:15], -0.5, v[52:53]
	v_add_f64 v[52:53], v[140:141], -v[134:135]
	v_add_f64 v[54:55], v[142:143], -v[148:149]
	v_add_f64 v[82:83], v[52:53], v[54:55]
	v_fma_f64 v[52:53], s[16:17], v[62:63], v[12:13]
	v_fma_f64 v[54:55], s[2:3], v[66:67], v[14:15]
	v_fmac_f64_e32 v[12:13], s[2:3], v[62:63]
	v_fmac_f64_e32 v[14:15], s[16:17], v[66:67]
	v_fmac_f64_e32 v[12:13], s[18:19], v[60:61]
	v_fmac_f64_e32 v[14:15], s[8:9], v[64:65]
	v_fmac_f64_e32 v[12:13], s[14:15], v[80:81]
	v_fmac_f64_e32 v[14:15], s[14:15], v[82:83]
	ds_write_b128 v180, v[12:15] offset:19360
	ds_read_b128 v[12:15], v180 offset:1760
	v_fmac_f64_e32 v[16:17], s[16:17], v[60:61]
	v_fmac_f64_e32 v[18:19], s[2:3], v[64:65]
	v_fmac_f64_e32 v[16:17], s[18:19], v[62:63]
	v_fmac_f64_e32 v[18:19], s[8:9], v[66:67]
	v_fmac_f64_e32 v[16:17], s[14:15], v[56:57]
	v_fmac_f64_e32 v[18:19], s[14:15], v[58:59]
	ds_write_b128 v180, v[16:19] offset:25520
	s_waitcnt lgkmcnt(1)
	v_add_f64 v[16:17], v[12:13], v[120:121]
	v_add_f64 v[18:19], v[14:15], v[118:119]
	v_add_f64 v[16:17], v[16:17], v[126:127]
	v_add_f64 v[18:19], v[18:19], v[122:123]
	v_add_f64 v[16:17], v[16:17], v[128:129]
	v_add_f64 v[18:19], v[18:19], v[124:125]
	v_add_f64 v[16:17], v[16:17], v[132:133]
	v_add_f64 v[18:19], v[18:19], v[130:131]
	v_fmac_f64_e32 v[52:53], s[8:9], v[60:61]
	v_fmac_f64_e32 v[54:55], s[18:19], v[64:65]
	ds_write_b128 v180, v[16:19] offset:1760
	v_add_f64 v[16:17], v[120:121], -v[126:127]
	v_add_f64 v[18:19], v[132:133], -v[128:129]
	v_fmac_f64_e32 v[52:53], s[14:15], v[80:81]
	v_fmac_f64_e32 v[54:55], s[14:15], v[82:83]
	v_add_f64 v[56:57], v[16:17], v[18:19]
	v_add_f64 v[16:17], v[126:127], v[128:129]
	v_add_f64 v[18:19], v[122:123], v[124:125]
	ds_write_b128 v180, v[52:55] offset:13200
	v_fma_f64 v[16:17], -0.5, v[16:17], v[12:13]
	v_fma_f64 v[18:19], -0.5, v[18:19], v[14:15]
	v_add_f64 v[52:53], v[118:119], -v[122:123]
	v_add_f64 v[54:55], v[130:131], -v[124:125]
	v_add_f64 v[60:61], v[118:119], -v[130:131]
	v_add_f64 v[64:65], v[120:121], -v[132:133]
	v_add_f64 v[58:59], v[52:53], v[54:55]
	v_add_f64 v[62:63], v[122:123], -v[124:125]
	v_fma_f64 v[52:53], s[2:3], v[60:61], v[16:17]
	v_fma_f64 v[54:55], s[16:17], v[64:65], v[18:19]
	v_add_f64 v[66:67], v[126:127], -v[128:129]
	;; [unrolled: 63-line block ×5, first 2 shown]
	v_fmac_f64_e32 v[52:53], s[8:9], v[62:63]
	v_fmac_f64_e32 v[54:55], s[18:19], v[66:67]
	v_fmac_f64_e32 v[52:53], s[14:15], v[56:57]
	v_fmac_f64_e32 v[54:55], s[14:15], v[58:59]
	ds_write_b128 v180, v[52:55] offset:10560
	v_add_f64 v[52:53], v[38:39], v[50:51]
	v_add_f64 v[38:39], v[42:43], -v[38:39]
	v_add_f64 v[42:43], v[46:47], -v[50:51]
	v_add_f64 v[42:43], v[38:39], v[42:43]
	v_add_f64 v[38:39], v[36:37], v[48:49]
	v_fmac_f64_e32 v[12:13], -0.5, v[52:53]
	v_fmac_f64_e32 v[14:15], -0.5, v[38:39]
	v_add_f64 v[36:37], v[40:41], -v[36:37]
	v_add_f64 v[38:39], v[44:45], -v[48:49]
	v_add_f64 v[40:41], v[36:37], v[38:39]
	v_fma_f64 v[36:37], s[16:17], v[62:63], v[12:13]
	v_fma_f64 v[38:39], s[2:3], v[66:67], v[14:15]
	v_fmac_f64_e32 v[12:13], s[2:3], v[62:63]
	v_fmac_f64_e32 v[14:15], s[16:17], v[66:67]
	;; [unrolled: 1-line block ×6, first 2 shown]
	ds_write_b128 v180, v[12:15] offset:22880
	ds_read_b128 v[12:15], v180 offset:5280
	v_fmac_f64_e32 v[16:17], s[16:17], v[60:61]
	v_fmac_f64_e32 v[18:19], s[2:3], v[64:65]
	;; [unrolled: 1-line block ×6, first 2 shown]
	ds_write_b128 v180, v[16:19] offset:29040
	s_waitcnt lgkmcnt(1)
	v_add_f64 v[16:17], v[12:13], v[22:23]
	v_add_f64 v[18:19], v[14:15], v[20:21]
	;; [unrolled: 1-line block ×8, first 2 shown]
	v_fmac_f64_e32 v[36:37], s[8:9], v[60:61]
	v_fmac_f64_e32 v[38:39], s[18:19], v[64:65]
	ds_write_b128 v180, v[16:19] offset:5280
	v_add_f64 v[16:17], v[22:23], -v[26:27]
	v_add_f64 v[18:19], v[34:35], -v[30:31]
	v_fmac_f64_e32 v[36:37], s[14:15], v[42:43]
	v_fmac_f64_e32 v[38:39], s[14:15], v[40:41]
	v_add_f64 v[40:41], v[16:17], v[18:19]
	v_add_f64 v[16:17], v[26:27], v[30:31]
	v_add_f64 v[18:19], v[24:25], v[28:29]
	ds_write_b128 v180, v[36:39] offset:16720
	v_fma_f64 v[16:17], -0.5, v[16:17], v[12:13]
	v_fma_f64 v[18:19], -0.5, v[18:19], v[14:15]
	v_add_f64 v[36:37], v[20:21], -v[24:25]
	v_add_f64 v[38:39], v[32:33], -v[28:29]
	;; [unrolled: 1-line block ×4, first 2 shown]
	v_add_f64 v[42:43], v[36:37], v[38:39]
	v_add_f64 v[46:47], v[24:25], -v[28:29]
	v_fma_f64 v[36:37], s[2:3], v[44:45], v[16:17]
	v_fma_f64 v[38:39], s[16:17], v[48:49], v[18:19]
	v_add_f64 v[50:51], v[26:27], -v[30:31]
	v_fmac_f64_e32 v[36:37], s[8:9], v[46:47]
	v_fmac_f64_e32 v[38:39], s[18:19], v[50:51]
	;; [unrolled: 1-line block ×4, first 2 shown]
	ds_write_b128 v180, v[36:39] offset:11440
	v_add_f64 v[36:37], v[22:23], v[34:35]
	v_add_f64 v[22:23], v[26:27], -v[22:23]
	v_add_f64 v[26:27], v[30:31], -v[34:35]
	v_add_f64 v[26:27], v[22:23], v[26:27]
	v_add_f64 v[22:23], v[20:21], v[32:33]
	v_fmac_f64_e32 v[12:13], -0.5, v[36:37]
	v_fmac_f64_e32 v[14:15], -0.5, v[22:23]
	v_add_f64 v[20:21], v[24:25], -v[20:21]
	v_add_f64 v[22:23], v[28:29], -v[32:33]
	v_add_f64 v[24:25], v[20:21], v[22:23]
	v_fma_f64 v[20:21], s[16:17], v[46:47], v[12:13]
	v_fma_f64 v[22:23], s[2:3], v[50:51], v[14:15]
	v_fmac_f64_e32 v[12:13], s[2:3], v[46:47]
	v_fmac_f64_e32 v[14:15], s[16:17], v[50:51]
	;; [unrolled: 1-line block ×10, first 2 shown]
	ds_write_b128 v180, v[12:15] offset:23760
	v_fmac_f64_e32 v[16:17], s[18:19], v[46:47]
	v_fmac_f64_e32 v[18:19], s[8:9], v[50:51]
	v_add_co_u32_e64 v12, s[0:1], s0, v104
	v_fmac_f64_e32 v[20:21], s[14:15], v[26:27]
	v_fmac_f64_e32 v[22:23], s[14:15], v[24:25]
	v_fmac_f64_e32 v[16:17], s[14:15], v[40:41]
	v_fmac_f64_e32 v[18:19], s[14:15], v[42:43]
	v_addc_co_u32_e64 v13, s[0:1], 0, v105, s[0:1]
	ds_write_b128 v180, v[20:23] offset:17600
	ds_write_b128 v180, v[16:19] offset:29920
	s_waitcnt lgkmcnt(0)
	; wave barrier
	s_waitcnt lgkmcnt(0)
	global_load_dwordx4 v[16:19], v[12:13], off offset:2128
	ds_read_b128 v[20:23], v180
	ds_read_b128 v[54:57], v180 offset:880
	s_mov_b32 s0, 0x8000
	v_add_co_u32_e64 v46, s[0:1], s0, v104
	ds_read_b128 v[24:27], v180 offset:4400
	ds_read_b128 v[28:31], v180 offset:8800
	v_addc_co_u32_e64 v47, s[0:1], 0, v105, s[0:1]
	s_mov_b32 s0, 0x9000
	s_nop 0
	v_add_co_u32_e64 v48, s[0:1], s0, v104
	ds_read_b128 v[32:35], v180 offset:13200
	ds_read_b128 v[36:39], v180 offset:17600
	v_addc_co_u32_e64 v49, s[0:1], 0, v105, s[0:1]
	s_mov_b32 s0, 0xa000
	s_nop 0
	;; [unrolled: 6-line block ×3, first 2 shown]
	v_add_co_u32_e64 v164, s[0:1], s0, v104
	s_mov_b32 s14, 0xaaaaaaaa
	s_nop 0
	v_addc_co_u32_e64 v165, s[0:1], 0, v105, s[0:1]
	s_mov_b32 s0, 0xc000
	s_nop 0
	v_add_co_u32_e64 v168, s[0:1], s0, v104
	s_mov_b32 s15, 0xbff2aaaa
	s_nop 0
	v_addc_co_u32_e64 v169, s[0:1], 0, v105, s[0:1]
	s_mov_b32 s0, 0xd000
	s_nop 0
	v_add_co_u32_e64 v172, s[0:1], s0, v104
	s_mov_b32 s16, 0xe976ee23
	s_nop 0
	v_addc_co_u32_e64 v173, s[0:1], 0, v105, s[0:1]
	s_mov_b64 s[0:1], 0x7850
	s_nop 0
	v_lshl_add_u64 v[44:45], v[104:105], 0, s[0:1]
	s_mov_b32 s0, 0xe000
	v_add_co_u32_e64 v174, s[0:1], s0, v104
	s_mov_b32 s8, 0x429ad128
	s_nop 0
	v_addc_co_u32_e64 v175, s[0:1], 0, v105, s[0:1]
	s_mov_b32 s0, 0x36b3c0b5
	s_mov_b32 s17, 0x3fe11646
	;; [unrolled: 1-line block ×9, first 2 shown]
	s_waitcnt vmcnt(0) lgkmcnt(7)
	v_mul_f64 v[12:13], v[22:23], v[18:19]
	v_mul_f64 v[14:15], v[20:21], v[18:19]
	v_fma_f64 v[12:13], v[20:21], v[16:17], -v[12:13]
	v_fmac_f64_e32 v[14:15], v[22:23], v[16:17]
	global_load_dwordx4 v[20:23], v[46:47], off offset:2432
	s_waitcnt vmcnt(0) lgkmcnt(5)
	v_mul_f64 v[16:17], v[26:27], v[22:23]
	v_mul_f64 v[18:19], v[24:25], v[22:23]
	v_fma_f64 v[16:17], v[24:25], v[20:21], -v[16:17]
	v_fmac_f64_e32 v[18:19], v[26:27], v[20:21]
	global_load_dwordx4 v[24:27], v[48:49], off offset:2736
	;; [unrolled: 6-line block ×7, first 2 shown]
	s_waitcnt vmcnt(0)
	v_mul_f64 v[40:41], v[56:57], v[52:53]
	v_mul_f64 v[42:43], v[54:55], v[52:53]
	v_fma_f64 v[40:41], v[54:55], v[50:51], -v[40:41]
	v_fmac_f64_e32 v[42:43], v[56:57], v[50:51]
	global_load_dwordx4 v[50:53], v[46:47], off offset:3312
	ds_read_b128 v[54:57], v180 offset:5280
	s_waitcnt vmcnt(0) lgkmcnt(0)
	v_mul_f64 v[46:47], v[56:57], v[52:53]
	v_mul_f64 v[70:71], v[54:55], v[52:53]
	v_fma_f64 v[68:69], v[54:55], v[50:51], -v[46:47]
	v_fmac_f64_e32 v[70:71], v[56:57], v[50:51]
	global_load_dwordx4 v[50:53], v[48:49], off offset:3616
	ds_read_b128 v[54:57], v180 offset:9680
	s_waitcnt vmcnt(0) lgkmcnt(0)
	;; [unrolled: 7-line block ×21, first 2 shown]
	v_mul_f64 v[44:45], v[56:57], v[52:53]
	v_fma_f64 v[44:45], v[54:55], v[50:51], -v[44:45]
	v_mul_f64 v[46:47], v[54:55], v[52:53]
	global_load_dwordx4 v[52:55], v[48:49], off offset:1856
	v_fmac_f64_e32 v[46:47], v[56:57], v[50:51]
	ds_read_b128 v[56:59], v180 offset:7920
	s_waitcnt vmcnt(0) lgkmcnt(0)
	v_mul_f64 v[48:49], v[58:59], v[54:55]
	v_mul_f64 v[50:51], v[56:57], v[54:55]
	v_fma_f64 v[48:49], v[56:57], v[52:53], -v[48:49]
	v_fmac_f64_e32 v[50:51], v[58:59], v[52:53]
	global_load_dwordx4 v[52:55], v[160:161], off offset:2160
	ds_read_b128 v[56:59], v180 offset:12320
	s_waitcnt vmcnt(0) lgkmcnt(0)
	v_mul_f64 v[60:61], v[58:59], v[54:55]
	v_mul_f64 v[162:163], v[56:57], v[54:55]
	v_fma_f64 v[160:161], v[56:57], v[52:53], -v[60:61]
	v_fmac_f64_e32 v[162:163], v[58:59], v[52:53]
	global_load_dwordx4 v[52:55], v[164:165], off offset:2464
	;; [unrolled: 7-line block ×5, first 2 shown]
	ds_read_b128 v[56:59], v180 offset:29920
	s_waitcnt vmcnt(0) lgkmcnt(0)
	v_mul_f64 v[64:65], v[58:59], v[54:55]
	v_mul_f64 v[66:67], v[56:57], v[54:55]
	v_fma_f64 v[64:65], v[56:57], v[52:53], -v[64:65]
	v_fmac_f64_e32 v[66:67], v[58:59], v[52:53]
	ds_write_b128 v180, v[12:15]
	ds_write_b128 v180, v[16:19] offset:4400
	ds_write_b128 v180, v[20:23] offset:8800
	;; [unrolled: 1-line block ×34, first 2 shown]
	s_waitcnt lgkmcnt(0)
	; wave barrier
	s_waitcnt lgkmcnt(0)
	ds_read_b128 v[12:15], v180 offset:4400
	ds_read_b128 v[16:19], v180 offset:26400
	s_waitcnt lgkmcnt(0)
	v_add_f64 v[20:21], v[12:13], v[16:17]
	v_add_f64 v[22:23], v[14:15], v[18:19]
	v_add_f64 v[12:13], v[12:13], -v[16:17]
	v_add_f64 v[14:15], v[14:15], -v[18:19]
	ds_read_b128 v[16:19], v180 offset:8800
	ds_read_b128 v[24:27], v180 offset:22000
	s_waitcnt lgkmcnt(0)
	v_add_f64 v[34:35], v[16:17], v[24:25]
	v_add_f64 v[32:33], v[18:19], v[26:27]
	v_add_f64 v[30:31], v[16:17], -v[24:25]
	v_add_f64 v[28:29], v[18:19], -v[26:27]
	ds_read_b128 v[24:27], v180 offset:13200
	ds_read_b128 v[36:39], v180 offset:17600
	v_add_f64 v[48:49], v[32:33], -v[22:23]
	v_add_f64 v[50:51], v[30:31], -v[12:13]
	;; [unrolled: 1-line block ×3, first 2 shown]
	s_waitcnt lgkmcnt(0)
	v_add_f64 v[16:17], v[24:25], v[36:37]
	v_add_f64 v[18:19], v[26:27], v[38:39]
	v_add_f64 v[36:37], v[36:37], -v[24:25]
	v_add_f64 v[38:39], v[38:39], -v[26:27]
	ds_read_b128 v[24:27], v180 offset:5280
	ds_read_b128 v[40:43], v180 offset:27280
	v_add_f64 v[46:47], v[16:17], -v[34:35]
	v_add_f64 v[52:53], v[18:19], -v[32:33]
	;; [unrolled: 1-line block ×3, first 2 shown]
	v_mul_f64 v[54:55], v[54:55], s[16:17]
	s_waitcnt lgkmcnt(0)
	v_add_f64 v[72:73], v[24:25], v[40:41]
	v_add_f64 v[74:75], v[26:27], v[42:43]
	v_add_f64 v[76:77], v[24:25], -v[40:41]
	v_add_f64 v[78:79], v[26:27], -v[42:43]
	ds_read_b128 v[24:27], v180 offset:9680
	ds_read_b128 v[40:43], v180 offset:22880
	v_fma_f64 v[66:67], v[56:57], s[8:9], -v[54:55]
	s_waitcnt lgkmcnt(0)
	v_add_f64 v[114:115], v[24:25], v[40:41]
	v_add_f64 v[112:113], v[26:27], v[42:43]
	v_add_f64 v[110:111], v[24:25], -v[40:41]
	v_add_f64 v[108:109], v[26:27], -v[42:43]
	ds_read_b128 v[24:27], v180 offset:14080
	ds_read_b128 v[40:43], v180 offset:18480
	s_waitcnt lgkmcnt(0)
	v_add_f64 v[84:85], v[24:25], v[40:41]
	v_add_f64 v[86:87], v[26:27], v[42:43]
	v_add_f64 v[92:93], v[40:41], -v[24:25]
	v_add_f64 v[94:95], v[42:43], -v[26:27]
	ds_read_b128 v[24:27], v180 offset:6160
	ds_read_b128 v[40:43], v180 offset:28160
	;; [unrolled: 7-line block ×10, first 2 shown]
	s_waitcnt lgkmcnt(0)
	v_add_f64 v[164:165], v[24:25], v[40:41]
	v_add_f64 v[168:169], v[40:41], -v[24:25]
	v_add_f64 v[24:25], v[34:35], v[20:21]
	v_add_f64 v[40:41], v[16:17], v[24:25]
	;; [unrolled: 1-line block ×4, first 2 shown]
	v_add_f64 v[170:171], v[42:43], -v[26:27]
	v_add_f64 v[42:43], v[18:19], v[24:25]
	ds_read_b128 v[24:27], v180
	v_add_f64 v[32:33], v[36:37], v[30:31]
	v_add_f64 v[16:17], v[20:21], -v[16:17]
	v_add_f64 v[18:19], v[22:23], -v[18:19]
	v_add_f64 v[58:59], v[32:33], v[12:13]
	s_waitcnt lgkmcnt(0)
	v_add_f64 v[24:25], v[24:25], v[40:41]
	v_add_f64 v[26:27], v[26:27], v[42:43]
	v_mov_b64_e32 v[44:45], v[24:25]
	v_fmac_f64_e32 v[44:45], s[14:15], v[40:41]
	v_mov_b64_e32 v[40:41], v[26:27]
	v_fmac_f64_e32 v[40:41], s[14:15], v[42:43]
	v_add_f64 v[42:43], v[34:35], -v[20:21]
	v_add_f64 v[34:35], v[36:37], -v[30:31]
	v_add_f64 v[30:31], v[38:39], v[28:29]
	v_add_f64 v[60:61], v[30:31], v[14:15]
	v_mul_f64 v[62:63], v[34:35], s[16:17]
	v_add_f64 v[12:13], v[12:13], -v[36:37]
	v_add_f64 v[14:15], v[14:15], -v[38:39]
	v_mul_f64 v[16:17], v[16:17], s[20:21]
	v_mul_f64 v[18:19], v[18:19], s[20:21]
	;; [unrolled: 1-line block ×6, first 2 shown]
	v_fma_f64 v[64:65], v[50:51], s[8:9], -v[62:63]
	v_fma_f64 v[36:37], v[42:43], s[22:23], -v[16:17]
	;; [unrolled: 1-line block ×5, first 2 shown]
	v_fmac_f64_e32 v[16:17], s[0:1], v[46:47]
	v_fmac_f64_e32 v[18:19], s[0:1], v[52:53]
	v_fmac_f64_e32 v[62:63], s[10:11], v[12:13]
	v_fmac_f64_e32 v[54:55], s[10:11], v[14:15]
	v_fma_f64 v[28:29], v[42:43], s[18:19], -v[28:29]
	v_fma_f64 v[30:31], v[48:49], s[18:19], -v[30:31]
	v_add_f64 v[36:37], v[36:37], v[44:45]
	v_add_f64 v[38:39], v[38:39], v[40:41]
	v_fmac_f64_e32 v[20:21], s[2:3], v[58:59]
	v_fmac_f64_e32 v[22:23], s[2:3], v[60:61]
	v_add_f64 v[12:13], v[16:17], v[44:45]
	v_add_f64 v[14:15], v[18:19], v[40:41]
	v_fmac_f64_e32 v[62:63], s[2:3], v[58:59]
	v_fmac_f64_e32 v[54:55], s[2:3], v[60:61]
	v_add_f64 v[28:29], v[28:29], v[44:45]
	v_add_f64 v[30:31], v[30:31], v[40:41]
	;; [unrolled: 1-line block ×3, first 2 shown]
	v_add_f64 v[50:51], v[38:39], -v[20:21]
	v_add_f64 v[36:37], v[36:37], -v[22:23]
	v_add_f64 v[38:39], v[20:21], v[38:39]
	v_add_f64 v[68:69], v[12:13], v[54:55]
	v_add_f64 v[70:71], v[14:15], -v[62:63]
	v_add_f64 v[44:45], v[12:13], -v[54:55]
	v_add_f64 v[46:47], v[62:63], v[14:15]
	ds_read_b128 v[40:43], v180 offset:880
	ds_read_b128 v[20:23], v180 offset:1760
	;; [unrolled: 1-line block ×4, first 2 shown]
	s_waitcnt lgkmcnt(0)
	; wave barrier
	s_waitcnt lgkmcnt(0)
	scratch_load_dword v52, off, off offset:576 ; 4-byte Folded Reload
	v_fmac_f64_e32 v[64:65], s[2:3], v[58:59]
	v_fmac_f64_e32 v[66:67], s[2:3], v[60:61]
	v_add_f64 v[32:33], v[28:29], -v[66:67]
	v_add_f64 v[34:35], v[64:65], v[30:31]
	v_add_f64 v[28:29], v[28:29], v[66:67]
	v_add_f64 v[30:31], v[30:31], -v[64:65]
	s_waitcnt vmcnt(0)
	ds_write_b128 v52, v[24:27]
	ds_write_b128 v52, v[68:71] offset:16
	ds_write_b128 v52, v[48:51] offset:32
	;; [unrolled: 1-line block ×6, first 2 shown]
	v_add_f64 v[24:25], v[114:115], v[72:73]
	v_add_f64 v[28:29], v[84:85], v[24:25]
	;; [unrolled: 1-line block ×5, first 2 shown]
	v_mov_b64_e32 v[46:47], v[26:27]
	v_add_f64 v[24:25], v[40:41], v[28:29]
	v_fmac_f64_e32 v[46:47], s[14:15], v[30:31]
	v_add_f64 v[30:31], v[92:93], -v[110:111]
	v_mov_b64_e32 v[44:45], v[24:25]
	v_add_f64 v[40:41], v[110:111], -v[76:77]
	v_mul_f64 v[56:57], v[30:31], s[16:17]
	v_fmac_f64_e32 v[44:45], s[14:15], v[28:29]
	v_add_f64 v[28:29], v[92:93], v[110:111]
	v_fma_f64 v[60:61], v[40:41], s[8:9], -v[56:57]
	v_add_f64 v[64:65], v[76:77], -v[92:93]
	v_mul_f64 v[40:41], v[40:41], s[8:9]
	v_add_f64 v[52:53], v[28:29], v[76:77]
	v_fma_f64 v[68:69], v[64:65], s[24:25], -v[40:41]
	v_fmac_f64_e32 v[56:57], s[10:11], v[64:65]
	v_fmac_f64_e32 v[60:61], s[2:3], v[52:53]
	;; [unrolled: 1-line block ×4, first 2 shown]
	scratch_load_dword v52, off, off offset:572 ; 4-byte Folded Reload
	v_add_f64 v[48:49], v[84:85], -v[114:115]
	v_add_f64 v[50:51], v[86:87], -v[112:113]
	;; [unrolled: 1-line block ×5, first 2 shown]
	v_add_f64 v[32:33], v[94:95], v[108:109]
	v_add_f64 v[42:43], v[108:109], -v[78:79]
	v_mul_f64 v[58:59], v[34:35], s[16:17]
	v_mul_f64 v[28:29], v[48:49], s[0:1]
	;; [unrolled: 1-line block ×3, first 2 shown]
	v_add_f64 v[54:55], v[32:33], v[78:79]
	v_fma_f64 v[28:29], v[36:37], s[18:19], -v[28:29]
	v_fma_f64 v[30:31], v[38:39], s[18:19], -v[30:31]
	;; [unrolled: 1-line block ×3, first 2 shown]
	v_add_f64 v[32:33], v[28:29], v[44:45]
	v_add_f64 v[34:35], v[30:31], v[46:47]
	v_fmac_f64_e32 v[62:63], s[2:3], v[54:55]
	v_add_f64 v[28:29], v[32:33], -v[62:63]
	v_add_f64 v[30:31], v[60:61], v[34:35]
	v_add_f64 v[32:33], v[32:33], v[62:63]
	v_add_f64 v[34:35], v[34:35], -v[60:61]
	v_add_f64 v[60:61], v[72:73], -v[84:85]
	;; [unrolled: 1-line block ×4, first 2 shown]
	v_mul_f64 v[60:61], v[60:61], s[20:21]
	v_mul_f64 v[62:63], v[62:63], s[20:21]
	;; [unrolled: 1-line block ×3, first 2 shown]
	v_fma_f64 v[36:37], v[36:37], s[22:23], -v[60:61]
	v_fma_f64 v[38:39], v[38:39], s[22:23], -v[62:63]
	;; [unrolled: 1-line block ×3, first 2 shown]
	v_fmac_f64_e32 v[60:61], s[0:1], v[48:49]
	v_fmac_f64_e32 v[62:63], s[0:1], v[50:51]
	;; [unrolled: 1-line block ×3, first 2 shown]
	v_add_f64 v[42:43], v[36:37], v[44:45]
	v_add_f64 v[70:71], v[38:39], v[46:47]
	v_fmac_f64_e32 v[40:41], s[2:3], v[54:55]
	v_add_f64 v[48:49], v[60:61], v[44:45]
	v_add_f64 v[50:51], v[62:63], v[46:47]
	v_fmac_f64_e32 v[58:59], s[2:3], v[54:55]
	v_add_f64 v[36:37], v[42:43], v[40:41]
	v_add_f64 v[38:39], v[70:71], -v[68:69]
	v_add_f64 v[40:41], v[42:43], -v[40:41]
	v_add_f64 v[42:43], v[68:69], v[70:71]
	v_add_f64 v[44:45], v[48:49], v[58:59]
	v_add_f64 v[46:47], v[50:51], -v[56:57]
	v_add_f64 v[48:49], v[48:49], -v[58:59]
	v_add_f64 v[50:51], v[56:57], v[50:51]
	s_waitcnt vmcnt(0)
	ds_write_b128 v52, v[24:27]
	ds_write_b128 v52, v[44:47] offset:16
	ds_write_b128 v52, v[36:39] offset:32
	;; [unrolled: 1-line block ×6, first 2 shown]
	v_add_f64 v[24:25], v[138:139], v[96:97]
	v_add_f64 v[26:27], v[136:137], v[98:99]
	;; [unrolled: 1-line block ×6, first 2 shown]
	v_mov_b64_e32 v[40:41], v[20:21]
	v_mov_b64_e32 v[42:43], v[22:23]
	v_fmac_f64_e32 v[40:41], s[14:15], v[24:25]
	v_fmac_f64_e32 v[42:43], s[14:15], v[26:27]
	v_add_f64 v[44:45], v[116:117], -v[138:139]
	v_add_f64 v[46:47], v[118:119], -v[136:137]
	v_add_f64 v[24:25], v[120:121], v[134:135]
	v_add_f64 v[26:27], v[120:121], -v[134:135]
	v_add_f64 v[30:31], v[122:123], -v[132:133]
	;; [unrolled: 1-line block ×5, first 2 shown]
	v_add_f64 v[28:29], v[122:123], v[132:133]
	v_add_f64 v[38:39], v[132:133], -v[106:107]
	v_add_f64 v[48:49], v[24:25], v[104:105]
	v_mul_f64 v[52:53], v[26:27], s[16:17]
	v_mul_f64 v[54:55], v[30:31], s[16:17]
	;; [unrolled: 1-line block ×4, first 2 shown]
	v_add_f64 v[50:51], v[28:29], v[106:107]
	v_fma_f64 v[24:25], v[32:33], s[18:19], -v[24:25]
	v_fma_f64 v[26:27], v[34:35], s[18:19], -v[26:27]
	v_fma_f64 v[56:57], v[36:37], s[8:9], -v[52:53]
	v_fma_f64 v[58:59], v[38:39], s[8:9], -v[54:55]
	v_add_f64 v[28:29], v[24:25], v[40:41]
	v_add_f64 v[30:31], v[26:27], v[42:43]
	v_fmac_f64_e32 v[56:57], s[2:3], v[48:49]
	v_fmac_f64_e32 v[58:59], s[2:3], v[50:51]
	v_add_f64 v[24:25], v[28:29], -v[58:59]
	v_add_f64 v[26:27], v[56:57], v[30:31]
	v_add_f64 v[28:29], v[28:29], v[58:59]
	v_add_f64 v[30:31], v[30:31], -v[56:57]
	v_add_f64 v[56:57], v[96:97], -v[116:117]
	;; [unrolled: 1-line block ×5, first 2 shown]
	v_mul_f64 v[56:57], v[56:57], s[20:21]
	v_mul_f64 v[58:59], v[58:59], s[20:21]
	;; [unrolled: 1-line block ×4, first 2 shown]
	v_fma_f64 v[32:33], v[32:33], s[22:23], -v[56:57]
	v_fma_f64 v[34:35], v[34:35], s[22:23], -v[58:59]
	;; [unrolled: 1-line block ×4, first 2 shown]
	v_fmac_f64_e32 v[56:57], s[0:1], v[44:45]
	v_fmac_f64_e32 v[58:59], s[0:1], v[46:47]
	;; [unrolled: 1-line block ×4, first 2 shown]
	v_add_f64 v[38:39], v[32:33], v[40:41]
	v_add_f64 v[66:67], v[34:35], v[42:43]
	v_fmac_f64_e32 v[64:65], s[2:3], v[48:49]
	v_fmac_f64_e32 v[36:37], s[2:3], v[50:51]
	v_add_f64 v[44:45], v[56:57], v[40:41]
	v_add_f64 v[46:47], v[58:59], v[42:43]
	v_fmac_f64_e32 v[52:53], s[2:3], v[48:49]
	v_fmac_f64_e32 v[54:55], s[2:3], v[50:51]
	v_accvgpr_read_b32 v48, a230
	v_add_f64 v[32:33], v[38:39], v[36:37]
	v_add_f64 v[34:35], v[66:67], -v[64:65]
	v_add_f64 v[36:37], v[38:39], -v[36:37]
	v_add_f64 v[38:39], v[64:65], v[66:67]
	v_add_f64 v[40:41], v[44:45], v[54:55]
	v_add_f64 v[42:43], v[46:47], -v[52:53]
	v_add_f64 v[44:45], v[44:45], -v[54:55]
	v_add_f64 v[46:47], v[52:53], v[46:47]
	ds_write_b128 v48, v[20:23]
	ds_write_b128 v48, v[40:43] offset:16
	ds_write_b128 v48, v[32:35] offset:32
	;; [unrolled: 1-line block ×6, first 2 shown]
	v_add_f64 v[22:23], v[160:161], v[126:127]
	v_add_f64 v[22:23], v[142:143], v[22:23]
	;; [unrolled: 1-line block ×5, first 2 shown]
	v_mov_b64_e32 v[38:39], v[18:19]
	v_add_f64 v[16:17], v[16:17], v[20:21]
	v_fmac_f64_e32 v[38:39], s[14:15], v[22:23]
	v_add_f64 v[22:23], v[144:145], -v[158:159]
	v_mov_b64_e32 v[36:37], v[16:17]
	v_add_f64 v[32:33], v[158:159], -v[128:129]
	v_mul_f64 v[48:49], v[22:23], s[16:17]
	v_fmac_f64_e32 v[36:37], s[14:15], v[20:21]
	v_add_f64 v[20:21], v[144:145], v[158:159]
	v_fma_f64 v[52:53], v[32:33], s[8:9], -v[48:49]
	v_add_f64 v[56:57], v[128:129], -v[144:145]
	v_mul_f64 v[32:33], v[32:33], s[8:9]
	v_add_f64 v[44:45], v[20:21], v[128:129]
	v_fma_f64 v[60:61], v[56:57], s[24:25], -v[32:33]
	v_fmac_f64_e32 v[48:49], s[10:11], v[56:57]
	v_fmac_f64_e32 v[52:53], s[2:3], v[44:45]
	;; [unrolled: 1-line block ×4, first 2 shown]
	scratch_load_dword v44, off, off offset:568 ; 4-byte Folded Reload
	v_add_f64 v[40:41], v[140:141], -v[162:163]
	v_add_f64 v[42:43], v[142:143], -v[160:161]
	;; [unrolled: 1-line block ×5, first 2 shown]
	v_add_f64 v[24:25], v[146:147], v[156:157]
	v_add_f64 v[34:35], v[156:157], -v[130:131]
	v_mul_f64 v[50:51], v[26:27], s[16:17]
	v_mul_f64 v[20:21], v[40:41], s[0:1]
	;; [unrolled: 1-line block ×3, first 2 shown]
	v_add_f64 v[46:47], v[24:25], v[130:131]
	v_fma_f64 v[20:21], v[28:29], s[18:19], -v[20:21]
	v_fma_f64 v[22:23], v[30:31], s[18:19], -v[22:23]
	;; [unrolled: 1-line block ×3, first 2 shown]
	v_add_f64 v[24:25], v[20:21], v[36:37]
	v_add_f64 v[26:27], v[22:23], v[38:39]
	v_fmac_f64_e32 v[54:55], s[2:3], v[46:47]
	v_add_f64 v[20:21], v[24:25], -v[54:55]
	v_add_f64 v[22:23], v[52:53], v[26:27]
	v_add_f64 v[24:25], v[24:25], v[54:55]
	v_add_f64 v[26:27], v[26:27], -v[52:53]
	v_add_f64 v[52:53], v[124:125], -v[140:141]
	v_add_f64 v[54:55], v[126:127], -v[142:143]
	v_add_f64 v[58:59], v[130:131], -v[146:147]
	v_mul_f64 v[52:53], v[52:53], s[20:21]
	v_mul_f64 v[54:55], v[54:55], s[20:21]
	;; [unrolled: 1-line block ×3, first 2 shown]
	v_fma_f64 v[28:29], v[28:29], s[22:23], -v[52:53]
	v_fma_f64 v[30:31], v[30:31], s[22:23], -v[54:55]
	;; [unrolled: 1-line block ×3, first 2 shown]
	v_fmac_f64_e32 v[52:53], s[0:1], v[40:41]
	v_fmac_f64_e32 v[54:55], s[0:1], v[42:43]
	;; [unrolled: 1-line block ×3, first 2 shown]
	v_add_f64 v[34:35], v[28:29], v[36:37]
	v_add_f64 v[62:63], v[30:31], v[38:39]
	v_fmac_f64_e32 v[32:33], s[2:3], v[46:47]
	v_add_f64 v[40:41], v[52:53], v[36:37]
	v_add_f64 v[42:43], v[54:55], v[38:39]
	v_fmac_f64_e32 v[50:51], s[2:3], v[46:47]
	v_add_f64 v[28:29], v[34:35], v[32:33]
	v_add_f64 v[30:31], v[62:63], -v[60:61]
	v_add_f64 v[32:33], v[34:35], -v[32:33]
	v_add_f64 v[34:35], v[60:61], v[62:63]
	v_add_f64 v[36:37], v[40:41], v[50:51]
	v_add_f64 v[38:39], v[42:43], -v[48:49]
	v_add_f64 v[40:41], v[40:41], -v[50:51]
	v_add_f64 v[42:43], v[48:49], v[42:43]
	s_waitcnt vmcnt(0)
	ds_write_b128 v44, v[16:19]
	ds_write_b128 v44, v[36:39] offset:16
	ds_write_b128 v44, v[28:31] offset:32
	;; [unrolled: 1-line block ×6, first 2 shown]
	v_add_f64 v[26:27], v[168:169], -v[174:175]
	v_add_f64 v[32:33], v[174:175], -v[152:153]
	v_mul_f64 v[44:45], v[26:27], s[16:17]
	v_add_f64 v[24:25], v[168:169], v[174:175]
	v_fma_f64 v[48:49], v[32:33], s[8:9], -v[44:45]
	v_add_f64 v[52:53], v[152:153], -v[168:169]
	v_mul_f64 v[32:33], v[32:33], s[8:9]
	v_add_f64 v[40:41], v[24:25], v[152:153]
	v_fma_f64 v[56:57], v[52:53], s[24:25], -v[32:33]
	v_fma_f64 v[44:45], s[10:11], v[52:53], v[44:45]
	v_fmac_f64_e32 v[48:49], s[2:3], v[40:41]
	v_fmac_f64_e32 v[56:57], s[2:3], v[40:41]
	;; [unrolled: 1-line block ×3, first 2 shown]
	scratch_load_dword v40, off, off offset:788 ; 4-byte Folded Reload
	v_add_f64 v[16:17], v[178:179], v[148:149]
	v_add_f64 v[16:17], v[164:165], v[16:17]
	;; [unrolled: 1-line block ×6, first 2 shown]
	v_mov_b64_e32 v[36:37], v[20:21]
	v_fmac_f64_e32 v[36:37], s[14:15], v[16:17]
	v_mov_b64_e32 v[16:17], v[22:23]
	v_fmac_f64_e32 v[16:17], s[14:15], v[18:19]
	v_add_f64 v[18:19], v[164:165], -v[178:179]
	v_add_f64 v[38:39], v[166:167], -v[176:177]
	;; [unrolled: 1-line block ×5, first 2 shown]
	v_add_f64 v[28:29], v[170:171], v[172:173]
	v_add_f64 v[34:35], v[172:173], -v[154:155]
	v_mul_f64 v[46:47], v[30:31], s[16:17]
	v_mul_f64 v[24:25], v[18:19], s[0:1]
	;; [unrolled: 1-line block ×3, first 2 shown]
	v_add_f64 v[42:43], v[28:29], v[154:155]
	v_fma_f64 v[24:25], v[12:13], s[18:19], -v[24:25]
	v_fma_f64 v[26:27], v[14:15], s[18:19], -v[26:27]
	;; [unrolled: 1-line block ×3, first 2 shown]
	v_add_f64 v[28:29], v[24:25], v[36:37]
	v_add_f64 v[30:31], v[26:27], v[16:17]
	v_fmac_f64_e32 v[50:51], s[2:3], v[42:43]
	v_add_f64 v[24:25], v[28:29], -v[50:51]
	v_add_f64 v[26:27], v[48:49], v[30:31]
	v_add_f64 v[28:29], v[28:29], v[50:51]
	v_add_f64 v[30:31], v[30:31], -v[48:49]
	v_add_f64 v[48:49], v[148:149], -v[164:165]
	;; [unrolled: 1-line block ×4, first 2 shown]
	v_mul_f64 v[48:49], v[48:49], s[20:21]
	v_mul_f64 v[50:51], v[50:51], s[20:21]
	;; [unrolled: 1-line block ×3, first 2 shown]
	v_fma_f64 v[12:13], v[12:13], s[22:23], -v[48:49]
	v_fma_f64 v[14:15], v[14:15], s[22:23], -v[50:51]
	;; [unrolled: 1-line block ×3, first 2 shown]
	v_fma_f64 v[18:19], s[0:1], v[18:19], v[48:49]
	v_fmac_f64_e32 v[50:51], s[0:1], v[38:39]
	v_fmac_f64_e32 v[46:47], s[10:11], v[54:55]
	v_add_f64 v[12:13], v[12:13], v[36:37]
	v_add_f64 v[14:15], v[14:15], v[16:17]
	v_fmac_f64_e32 v[58:59], s[2:3], v[42:43]
	v_add_f64 v[18:19], v[18:19], v[36:37]
	v_add_f64 v[48:49], v[50:51], v[16:17]
	v_fmac_f64_e32 v[46:47], s[2:3], v[42:43]
	v_add_f64 v[32:33], v[12:13], v[58:59]
	v_add_f64 v[34:35], v[14:15], -v[56:57]
	v_add_f64 v[36:37], v[18:19], v[46:47]
	v_add_f64 v[38:39], v[48:49], -v[44:45]
	v_add_f64 v[12:13], v[12:13], -v[58:59]
	v_add_f64 v[14:15], v[56:57], v[14:15]
	v_add_f64 v[16:17], v[18:19], -v[46:47]
	v_add_f64 v[18:19], v[44:45], v[48:49]
	s_waitcnt vmcnt(0)
	ds_write_b128 v40, v[20:23]
	ds_write_b128 v40, v[36:39] offset:16
	ds_write_b128 v40, v[32:35] offset:32
	;; [unrolled: 1-line block ×6, first 2 shown]
	s_waitcnt lgkmcnt(0)
	; wave barrier
	s_waitcnt lgkmcnt(0)
	ds_read_b128 v[32:35], v180
	ds_read_b128 v[48:51], v180 offset:2800
	ds_read_b128 v[44:47], v180 offset:5600
	;; [unrolled: 1-line block ×32, first 2 shown]
	s_and_saveexec_b64 s[0:1], vcc
	s_cbranch_execz .LBB0_7
; %bb.6:
	ds_read_b128 v[12:15], v180 offset:2640
	ds_read_b128 v[16:19], v180 offset:5440
	;; [unrolled: 1-line block ×11, first 2 shown]
.LBB0_7:
	s_or_b64 exec, exec, s[0:1]
	scratch_load_dwordx4 v[52:55], off, off offset:628 ; 16-byte Folded Reload
	s_mov_b32 s2, 0xf8bb580b
	s_mov_b32 s10, 0x8eee2c13
	;; [unrolled: 1-line block ×28, first 2 shown]
	scratch_load_dwordx4 v[56:59], off, off offset:824 ; 16-byte Folded Reload
	s_waitcnt vmcnt(1) lgkmcnt(14)
	v_mul_f64 v[206:207], v[54:55], v[50:51]
	v_fmac_f64_e32 v[206:207], v[52:53], v[48:49]
	v_mul_f64 v[48:49], v[54:55], v[48:49]
	v_fma_f64 v[200:201], v[52:53], v[50:51], -v[48:49]
	scratch_load_dwordx4 v[48:51], off, off offset:612 ; 16-byte Folded Reload
	s_waitcnt vmcnt(0)
	v_mul_f64 v[192:193], v[50:51], v[46:47]
	v_fmac_f64_e32 v[192:193], v[48:49], v[44:45]
	v_mul_f64 v[44:45], v[50:51], v[44:45]
	v_fma_f64 v[194:195], v[48:49], v[46:47], -v[44:45]
	scratch_load_dwordx4 v[46:49], off, off offset:596 ; 16-byte Folded Reload
	s_waitcnt vmcnt(0)
	v_mul_f64 v[184:185], v[48:49], v[178:179]
	v_mul_f64 v[44:45], v[48:49], v[176:177]
	v_fmac_f64_e32 v[184:185], v[46:47], v[176:177]
	v_fma_f64 v[186:187], v[46:47], v[178:179], -v[44:45]
	scratch_load_dwordx4 v[46:49], off, off offset:580 ; 16-byte Folded Reload
	s_waitcnt vmcnt(0)
	v_mul_f64 v[100:101], v[48:49], v[174:175]
	v_mul_f64 v[44:45], v[48:49], v[172:173]
	v_fmac_f64_e32 v[100:101], v[46:47], v[172:173]
	;; [unrolled: 6-line block ×11, first 2 shown]
	v_fma_f64 v[140:141], v[46:47], v[142:143], -v[44:45]
	scratch_load_dwordx4 v[46:49], off, off offset:792 ; 16-byte Folded Reload
	s_waitcnt vmcnt(0)
	v_mul_f64 v[136:137], v[48:49], v[134:135]
	v_mul_f64 v[44:45], v[48:49], v[132:133]
	scratch_load_dwordx4 v[48:51], off, off offset:808 ; 16-byte Folded Reload
	v_fmac_f64_e32 v[136:137], v[46:47], v[132:133]
	v_fma_f64 v[132:133], v[46:47], v[134:135], -v[44:45]
	s_waitcnt vmcnt(0)
	v_mul_f64 v[44:45], v[50:51], v[130:131]
	v_mul_f64 v[46:47], v[50:51], v[128:129]
	;; [unrolled: 1-line block ×3, first 2 shown]
	v_fmac_f64_e32 v[44:45], v[48:49], v[128:129]
	v_fma_f64 v[46:47], v[48:49], v[130:131], -v[46:47]
	v_mul_f64 v[48:49], v[58:59], v[126:127]
	v_fma_f64 v[50:51], v[56:57], v[126:127], -v[50:51]
	scratch_load_dwordx4 v[126:129], off, off offset:840 ; 16-byte Folded Reload
	v_fmac_f64_e32 v[48:49], v[56:57], v[124:125]
	s_waitcnt vmcnt(0)
	v_mul_f64 v[124:125], v[128:129], v[122:123]
	v_mul_f64 v[56:57], v[128:129], v[120:121]
	v_fmac_f64_e32 v[124:125], v[126:127], v[120:121]
	v_fma_f64 v[120:121], v[126:127], v[122:123], -v[56:57]
	scratch_load_dwordx4 v[126:129], off, off offset:856 ; 16-byte Folded Reload
	s_waitcnt vmcnt(0) lgkmcnt(13)
	v_mul_f64 v[122:123], v[128:129], v[118:119]
	v_mul_f64 v[56:57], v[128:129], v[116:117]
	v_fmac_f64_e32 v[122:123], v[126:127], v[116:117]
	v_fma_f64 v[116:117], v[126:127], v[118:119], -v[56:57]
	scratch_load_dwordx4 v[126:129], off, off offset:872 ; 16-byte Folded Reload
	s_waitcnt lgkmcnt(0)
	; wave barrier
	s_waitcnt vmcnt(0) lgkmcnt(0)
	v_mul_f64 v[62:63], v[128:129], v[114:115]
	v_mul_f64 v[56:57], v[128:129], v[112:113]
	v_fmac_f64_e32 v[62:63], v[126:127], v[112:113]
	v_fma_f64 v[112:113], v[126:127], v[114:115], -v[56:57]
	v_accvgpr_read_b32 v129, a11
	v_accvgpr_read_b32 v128, a10
	v_accvgpr_read_b32 v127, a9
	v_accvgpr_read_b32 v126, a8
	v_mul_f64 v[114:115], v[128:129], v[110:111]
	v_mul_f64 v[56:57], v[128:129], v[108:109]
	v_fmac_f64_e32 v[114:115], v[126:127], v[108:109]
	v_fma_f64 v[118:119], v[126:127], v[110:111], -v[56:57]
	v_accvgpr_read_b32 v111, a31
	v_accvgpr_read_b32 v110, a30
	v_accvgpr_read_b32 v109, a29
	v_accvgpr_read_b32 v108, a28
	;; [unrolled: 8-line block ×4, first 2 shown]
	v_mul_f64 v[160:161], v[98:99], v[94:95]
	v_fmac_f64_e32 v[160:161], v[96:97], v[92:93]
	v_mul_f64 v[92:93], v[98:99], v[92:93]
	v_fma_f64 v[162:163], v[96:97], v[94:95], -v[92:93]
	v_accvgpr_read_b32 v95, a19
	v_accvgpr_read_b32 v94, a18
	v_accvgpr_read_b32 v93, a17
	v_accvgpr_read_b32 v92, a16
	v_mul_f64 v[152:153], v[94:95], v[86:87]
	v_fmac_f64_e32 v[152:153], v[92:93], v[84:85]
	v_mul_f64 v[84:85], v[94:95], v[84:85]
	v_fma_f64 v[154:155], v[92:93], v[86:87], -v[84:85]
	v_accvgpr_read_b32 v87, a49
	v_accvgpr_read_b32 v86, a48
	v_accvgpr_read_b32 v85, a47
	v_accvgpr_read_b32 v84, a46
	;; [unrolled: 8-line block ×7, first 2 shown]
	v_mul_f64 v[176:177], v[38:39], v[30:31]
	v_fmac_f64_e32 v[176:177], v[36:37], v[28:29]
	v_mul_f64 v[28:29], v[38:39], v[28:29]
	v_add_f64 v[42:43], v[200:201], -v[208:209]
	v_fma_f64 v[178:179], v[36:37], v[30:31], -v[28:29]
	v_add_f64 v[36:37], v[206:207], v[202:203]
	v_add_f64 v[38:39], v[200:201], v[208:209]
	v_mul_f64 v[68:69], v[42:43], s[2:3]
	v_mul_f64 v[76:77], v[42:43], s[10:11]
	;; [unrolled: 1-line block ×5, first 2 shown]
	v_add_f64 v[40:41], v[206:207], -v[202:203]
	v_fma_f64 v[70:71], s[0:1], v[36:37], v[68:69]
	v_mul_f64 v[72:73], v[38:39], s[0:1]
	v_fma_f64 v[68:69], v[36:37], s[0:1], -v[68:69]
	v_fma_f64 v[78:79], s[8:9], v[36:37], v[76:77]
	v_mul_f64 v[84:85], v[38:39], s[8:9]
	v_fma_f64 v[76:77], v[36:37], s[8:9], -v[76:77]
	v_fma_f64 v[94:95], s[14:15], v[36:37], v[92:93]
	v_mul_f64 v[96:97], v[38:39], s[14:15]
	v_fma_f64 v[92:93], v[36:37], s[14:15], -v[92:93]
	v_fma_f64 v[106:107], s[18:19], v[36:37], v[104:105]
	v_mul_f64 v[108:109], v[38:39], s[18:19]
	v_fma_f64 v[104:105], v[36:37], s[18:19], -v[104:105]
	v_fma_f64 v[126:127], s[22:23], v[36:37], v[42:43]
	v_mul_f64 v[38:39], v[38:39], s[22:23]
	v_fma_f64 v[36:37], v[36:37], s[22:23], -v[42:43]
	v_add_f64 v[42:43], v[194:195], -v[198:199]
	v_add_f64 v[28:29], v[32:33], v[206:207]
	v_add_f64 v[70:71], v[32:33], v[70:71]
	v_fma_f64 v[74:75], s[24:25], v[40:41], v[72:73]
	v_add_f64 v[68:69], v[32:33], v[68:69]
	v_fmac_f64_e32 v[72:73], s[2:3], v[40:41]
	v_add_f64 v[78:79], v[32:33], v[78:79]
	v_fma_f64 v[86:87], s[30:31], v[40:41], v[84:85]
	v_add_f64 v[76:77], v[32:33], v[76:77]
	v_fmac_f64_e32 v[84:85], s[10:11], v[40:41]
	;; [unrolled: 4-line block ×5, first 2 shown]
	v_add_f64 v[36:37], v[192:193], v[196:197]
	v_mul_f64 v[130:131], v[42:43], s[10:11]
	v_add_f64 v[30:31], v[34:35], v[200:201]
	v_add_f64 v[74:75], v[34:35], v[74:75]
	v_add_f64 v[72:73], v[34:35], v[72:73]
	v_add_f64 v[86:87], v[34:35], v[86:87]
	v_add_f64 v[84:85], v[34:35], v[84:85]
	v_add_f64 v[98:99], v[34:35], v[98:99]
	v_add_f64 v[96:97], v[34:35], v[96:97]
	v_add_f64 v[110:111], v[34:35], v[110:111]
	v_add_f64 v[108:109], v[34:35], v[108:109]
	v_add_f64 v[128:129], v[34:35], v[128:129]
	v_add_f64 v[34:35], v[34:35], v[38:39]
	v_add_f64 v[38:39], v[194:195], v[198:199]
	v_fma_f64 v[134:135], s[8:9], v[36:37], v[130:131]
	v_add_f64 v[40:41], v[192:193], -v[196:197]
	v_add_f64 v[70:71], v[134:135], v[70:71]
	v_mul_f64 v[134:135], v[38:39], s[8:9]
	v_fma_f64 v[130:131], v[36:37], s[8:9], -v[130:131]
	v_fma_f64 v[142:143], s[30:31], v[40:41], v[134:135]
	v_add_f64 v[68:69], v[130:131], v[68:69]
	v_fmac_f64_e32 v[134:135], s[10:11], v[40:41]
	v_mul_f64 v[130:131], v[42:43], s[20:21]
	v_add_f64 v[72:73], v[134:135], v[72:73]
	v_fma_f64 v[134:135], s[18:19], v[36:37], v[130:131]
	v_add_f64 v[78:79], v[134:135], v[78:79]
	v_mul_f64 v[134:135], v[38:39], s[18:19]
	v_fma_f64 v[130:131], v[36:37], s[18:19], -v[130:131]
	v_add_f64 v[74:75], v[142:143], v[74:75]
	v_fma_f64 v[142:143], s[36:37], v[40:41], v[134:135]
	v_add_f64 v[76:77], v[130:131], v[76:77]
	v_fmac_f64_e32 v[134:135], s[20:21], v[40:41]
	v_mul_f64 v[130:131], v[42:43], s[34:35]
	v_add_f64 v[84:85], v[134:135], v[84:85]
	v_fma_f64 v[134:135], s[22:23], v[36:37], v[130:131]
	v_add_f64 v[94:95], v[134:135], v[94:95]
	v_mul_f64 v[134:135], v[38:39], s[22:23]
	v_fma_f64 v[130:131], v[36:37], s[22:23], -v[130:131]
	v_add_f64 v[86:87], v[142:143], v[86:87]
	v_fma_f64 v[142:143], s[26:27], v[40:41], v[134:135]
	v_add_f64 v[92:93], v[130:131], v[92:93]
	v_fmac_f64_e32 v[134:135], s[34:35], v[40:41]
	v_mul_f64 v[130:131], v[42:43], s[28:29]
	v_add_f64 v[96:97], v[134:135], v[96:97]
	v_fma_f64 v[134:135], s[14:15], v[36:37], v[130:131]
	v_fma_f64 v[130:131], v[36:37], s[14:15], -v[130:131]
	v_mul_f64 v[42:43], v[42:43], s[24:25]
	v_add_f64 v[106:107], v[134:135], v[106:107]
	v_mul_f64 v[134:135], v[38:39], s[14:15]
	v_add_f64 v[104:105], v[130:131], v[104:105]
	v_fma_f64 v[130:131], s[0:1], v[36:37], v[42:43]
	v_mul_f64 v[38:39], v[38:39], s[0:1]
	v_add_f64 v[126:127], v[130:131], v[126:127]
	v_fma_f64 v[130:131], s[2:3], v[40:41], v[38:39]
	v_fma_f64 v[36:37], v[36:37], s[0:1], -v[42:43]
	v_add_f64 v[42:43], v[186:187], -v[190:191]
	v_add_f64 v[98:99], v[142:143], v[98:99]
	v_fma_f64 v[142:143], s[16:17], v[40:41], v[134:135]
	v_fmac_f64_e32 v[134:135], s[28:29], v[40:41]
	v_add_f64 v[128:129], v[130:131], v[128:129]
	v_add_f64 v[32:33], v[36:37], v[32:33]
	v_fmac_f64_e32 v[38:39], s[24:25], v[40:41]
	v_add_f64 v[36:37], v[184:185], v[188:189]
	v_mul_f64 v[130:131], v[42:43], s[16:17]
	v_add_f64 v[108:109], v[134:135], v[108:109]
	v_add_f64 v[34:35], v[38:39], v[34:35]
	;; [unrolled: 1-line block ×3, first 2 shown]
	v_fma_f64 v[134:135], s[14:15], v[36:37], v[130:131]
	v_add_f64 v[40:41], v[184:185], -v[188:189]
	v_add_f64 v[70:71], v[134:135], v[70:71]
	v_mul_f64 v[134:135], v[38:39], s[14:15]
	v_fma_f64 v[130:131], v[36:37], s[14:15], -v[130:131]
	v_add_f64 v[110:111], v[142:143], v[110:111]
	v_fma_f64 v[142:143], s[28:29], v[40:41], v[134:135]
	v_add_f64 v[68:69], v[130:131], v[68:69]
	v_fmac_f64_e32 v[134:135], s[16:17], v[40:41]
	v_mul_f64 v[130:131], v[42:43], s[34:35]
	v_add_f64 v[72:73], v[134:135], v[72:73]
	v_fma_f64 v[134:135], s[22:23], v[36:37], v[130:131]
	v_add_f64 v[78:79], v[134:135], v[78:79]
	v_mul_f64 v[134:135], v[38:39], s[22:23]
	v_fma_f64 v[130:131], v[36:37], s[22:23], -v[130:131]
	v_add_f64 v[74:75], v[142:143], v[74:75]
	v_fma_f64 v[142:143], s[26:27], v[40:41], v[134:135]
	v_add_f64 v[76:77], v[130:131], v[76:77]
	v_fmac_f64_e32 v[134:135], s[34:35], v[40:41]
	v_mul_f64 v[130:131], v[42:43], s[30:31]
	v_add_f64 v[28:29], v[28:29], v[192:193]
	v_add_f64 v[84:85], v[134:135], v[84:85]
	v_fma_f64 v[134:135], s[8:9], v[36:37], v[130:131]
	v_add_f64 v[30:31], v[30:31], v[194:195]
	v_add_f64 v[28:29], v[28:29], v[184:185]
	;; [unrolled: 1-line block ×3, first 2 shown]
	v_mul_f64 v[134:135], v[38:39], s[8:9]
	v_fma_f64 v[130:131], v[36:37], s[8:9], -v[130:131]
	v_add_f64 v[30:31], v[30:31], v[186:187]
	v_add_f64 v[28:29], v[28:29], v[100:101]
	;; [unrolled: 1-line block ×3, first 2 shown]
	v_fma_f64 v[142:143], s[10:11], v[40:41], v[134:135]
	v_add_f64 v[92:93], v[130:131], v[92:93]
	v_fmac_f64_e32 v[134:135], s[30:31], v[40:41]
	v_mul_f64 v[130:131], v[42:43], s[2:3]
	v_add_f64 v[30:31], v[30:31], v[102:103]
	v_add_f64 v[28:29], v[28:29], v[80:81]
	;; [unrolled: 1-line block ×3, first 2 shown]
	v_fma_f64 v[134:135], s[0:1], v[36:37], v[130:131]
	v_fma_f64 v[130:131], v[36:37], s[0:1], -v[130:131]
	v_mul_f64 v[42:43], v[42:43], s[20:21]
	v_add_f64 v[30:31], v[30:31], v[82:83]
	v_add_f64 v[28:29], v[28:29], v[88:89]
	;; [unrolled: 1-line block ×3, first 2 shown]
	v_mul_f64 v[134:135], v[38:39], s[0:1]
	v_add_f64 v[104:105], v[130:131], v[104:105]
	v_fma_f64 v[130:131], s[18:19], v[36:37], v[42:43]
	v_mul_f64 v[38:39], v[38:39], s[18:19]
	v_fma_f64 v[36:37], v[36:37], s[18:19], -v[42:43]
	v_add_f64 v[42:43], v[102:103], -v[54:55]
	v_add_f64 v[30:31], v[30:31], v[90:91]
	v_add_f64 v[28:29], v[28:29], v[52:53]
	;; [unrolled: 1-line block ×3, first 2 shown]
	v_fma_f64 v[142:143], s[24:25], v[40:41], v[134:135]
	v_fmac_f64_e32 v[134:135], s[2:3], v[40:41]
	v_add_f64 v[126:127], v[130:131], v[126:127]
	v_fma_f64 v[130:131], s[36:37], v[40:41], v[38:39]
	v_add_f64 v[32:33], v[36:37], v[32:33]
	v_fmac_f64_e32 v[38:39], s[20:21], v[40:41]
	v_add_f64 v[36:37], v[100:101], v[52:53]
	v_add_f64 v[40:41], v[100:101], -v[52:53]
	v_mul_f64 v[52:53], v[42:43], s[20:21]
	v_add_f64 v[30:31], v[30:31], v[54:55]
	v_add_f64 v[34:35], v[38:39], v[34:35]
	;; [unrolled: 1-line block ×3, first 2 shown]
	v_fma_f64 v[54:55], s[18:19], v[36:37], v[52:53]
	v_add_f64 v[54:55], v[54:55], v[70:71]
	v_mul_f64 v[70:71], v[38:39], s[18:19]
	v_fma_f64 v[100:101], s[36:37], v[40:41], v[70:71]
	v_fma_f64 v[52:53], v[36:37], s[18:19], -v[52:53]
	v_fmac_f64_e32 v[70:71], s[20:21], v[40:41]
	v_add_f64 v[52:53], v[52:53], v[68:69]
	v_add_f64 v[68:69], v[70:71], v[72:73]
	v_mul_f64 v[70:71], v[42:43], s[28:29]
	v_fma_f64 v[72:73], s[14:15], v[36:37], v[70:71]
	v_add_f64 v[72:73], v[72:73], v[78:79]
	v_mul_f64 v[78:79], v[38:39], s[14:15]
	v_add_f64 v[74:75], v[100:101], v[74:75]
	v_fma_f64 v[100:101], s[16:17], v[40:41], v[78:79]
	v_fma_f64 v[70:71], v[36:37], s[14:15], -v[70:71]
	v_fmac_f64_e32 v[78:79], s[28:29], v[40:41]
	v_add_f64 v[70:71], v[70:71], v[76:77]
	v_add_f64 v[76:77], v[78:79], v[84:85]
	v_mul_f64 v[78:79], v[42:43], s[2:3]
	v_fma_f64 v[84:85], s[0:1], v[36:37], v[78:79]
	v_add_f64 v[84:85], v[84:85], v[94:95]
	v_mul_f64 v[94:95], v[38:39], s[0:1]
	v_fma_f64 v[78:79], v[36:37], s[0:1], -v[78:79]
	v_add_f64 v[86:87], v[100:101], v[86:87]
	v_fma_f64 v[100:101], s[24:25], v[40:41], v[94:95]
	v_add_f64 v[92:93], v[78:79], v[92:93]
	v_fmac_f64_e32 v[94:95], s[2:3], v[40:41]
	v_mul_f64 v[78:79], v[42:43], s[26:27]
	v_add_f64 v[94:95], v[94:95], v[96:97]
	v_fma_f64 v[96:97], s[22:23], v[36:37], v[78:79]
	v_fma_f64 v[78:79], v[36:37], s[22:23], -v[78:79]
	v_mul_f64 v[42:43], v[42:43], s[30:31]
	v_add_f64 v[98:99], v[100:101], v[98:99]
	v_mul_f64 v[100:101], v[38:39], s[22:23]
	v_add_f64 v[104:105], v[78:79], v[104:105]
	v_fma_f64 v[78:79], s[8:9], v[36:37], v[42:43]
	v_mul_f64 v[38:39], v[38:39], s[8:9]
	v_add_f64 v[110:111], v[142:143], v[110:111]
	v_add_f64 v[108:109], v[134:135], v[108:109]
	;; [unrolled: 1-line block ×4, first 2 shown]
	v_fma_f64 v[102:103], s[34:35], v[40:41], v[100:101]
	v_fmac_f64_e32 v[100:101], s[26:27], v[40:41]
	v_add_f64 v[106:107], v[78:79], v[126:127]
	v_fma_f64 v[78:79], s[10:11], v[40:41], v[38:39]
	v_fma_f64 v[36:37], v[36:37], s[8:9], -v[42:43]
	v_add_f64 v[130:131], v[82:83], v[90:91]
	v_add_f64 v[82:83], v[82:83], -v[90:91]
	v_add_f64 v[102:103], v[102:103], v[110:111]
	v_add_f64 v[100:101], v[100:101], v[108:109]
	;; [unrolled: 1-line block ×4, first 2 shown]
	v_fmac_f64_e32 v[38:39], s[30:31], v[40:41]
	v_add_f64 v[128:129], v[80:81], v[88:89]
	v_mul_f64 v[32:33], v[82:83], s[26:27]
	v_add_f64 v[126:127], v[38:39], v[34:35]
	v_fma_f64 v[34:35], s[22:23], v[128:129], v[32:33]
	v_add_f64 v[80:81], v[80:81], -v[88:89]
	v_add_f64 v[40:41], v[34:35], v[54:55]
	v_mul_f64 v[34:35], v[130:131], s[22:23]
	v_fma_f64 v[36:37], s[34:35], v[80:81], v[34:35]
	v_add_f64 v[42:43], v[36:37], v[74:75]
	v_mul_f64 v[36:37], v[82:83], s[24:25]
	v_fma_f64 v[38:39], s[0:1], v[128:129], v[36:37]
	v_fma_f64 v[32:33], v[128:129], s[22:23], -v[32:33]
	v_add_f64 v[72:73], v[38:39], v[72:73]
	v_mul_f64 v[38:39], v[130:131], s[0:1]
	v_add_f64 v[32:33], v[32:33], v[52:53]
	v_fma_f64 v[52:53], s[2:3], v[80:81], v[38:39]
	v_add_f64 v[74:75], v[52:53], v[86:87]
	v_mul_f64 v[52:53], v[82:83], s[20:21]
	v_fmac_f64_e32 v[38:39], s[24:25], v[80:81]
	v_fma_f64 v[54:55], s[18:19], v[128:129], v[52:53]
	v_fmac_f64_e32 v[34:35], s[26:27], v[80:81]
	v_add_f64 v[38:39], v[38:39], v[76:77]
	v_add_f64 v[76:77], v[54:55], v[84:85]
	v_mul_f64 v[54:55], v[130:131], s[18:19]
	v_add_f64 v[34:35], v[34:35], v[68:69]
	v_fma_f64 v[68:69], s[36:37], v[80:81], v[54:55]
	v_fma_f64 v[52:53], v[128:129], s[18:19], -v[52:53]
	v_fma_f64 v[36:37], v[128:129], s[0:1], -v[36:37]
	v_add_f64 v[78:79], v[68:69], v[98:99]
	v_add_f64 v[68:69], v[52:53], v[92:93]
	v_fmac_f64_e32 v[54:55], s[20:21], v[80:81]
	v_mul_f64 v[52:53], v[82:83], s[30:31]
	v_add_f64 v[36:37], v[36:37], v[70:71]
	v_add_f64 v[70:71], v[54:55], v[94:95]
	v_fma_f64 v[54:55], s[8:9], v[128:129], v[52:53]
	v_add_f64 v[92:93], v[54:55], v[96:97]
	v_mul_f64 v[54:55], v[130:131], s[8:9]
	v_fma_f64 v[84:85], s[10:11], v[80:81], v[54:55]
	v_fma_f64 v[52:53], v[128:129], s[8:9], -v[52:53]
	v_add_f64 v[94:95], v[84:85], v[102:103]
	v_add_f64 v[84:85], v[52:53], v[104:105]
	v_fmac_f64_e32 v[54:55], s[30:31], v[80:81]
	v_mul_f64 v[52:53], v[82:83], s[16:17]
	v_add_f64 v[86:87], v[54:55], v[100:101]
	v_fma_f64 v[54:55], s[14:15], v[128:129], v[52:53]
	v_add_f64 v[96:97], v[54:55], v[106:107]
	v_mul_f64 v[54:55], v[130:131], s[14:15]
	v_fma_f64 v[82:83], s[28:29], v[80:81], v[54:55]
	v_fmac_f64_e32 v[54:55], s[16:17], v[80:81]
	v_fma_f64 v[52:53], v[128:129], s[14:15], -v[52:53]
	v_add_f64 v[106:107], v[54:55], v[126:127]
	v_add_f64 v[54:55], v[26:27], v[66:67]
	v_add_f64 v[104:105], v[52:53], v[110:111]
	v_add_f64 v[52:53], v[24:25], v[64:65]
	v_add_f64 v[54:55], v[54:55], v[60:61]
	v_add_f64 v[52:53], v[52:53], v[182:183]
	v_add_f64 v[54:55], v[54:55], v[140:141]
	v_add_f64 v[52:53], v[52:53], v[138:139]
	v_add_f64 v[54:55], v[54:55], v[132:133]
	v_add_f64 v[52:53], v[52:53], v[136:137]
	v_add_f64 v[54:55], v[54:55], v[46:47]
	v_add_f64 v[52:53], v[52:53], v[44:45]
	v_add_f64 v[54:55], v[54:55], v[50:51]
	v_add_f64 v[52:53], v[52:53], v[48:49]
	v_add_f64 v[54:55], v[54:55], v[120:121]
	v_add_f64 v[52:53], v[52:53], v[124:125]
	v_add_f64 v[54:55], v[54:55], v[116:117]
	v_add_f64 v[52:53], v[52:53], v[122:123]
	v_add_f64 v[54:55], v[54:55], v[112:113]
	v_add_f64 v[52:53], v[52:53], v[62:63]
	v_add_f64 v[110:111], v[54:55], v[118:119]
	v_add_f64 v[54:55], v[66:67], v[118:119]
	v_add_f64 v[98:99], v[82:83], v[108:109]
	v_add_f64 v[108:109], v[52:53], v[114:115]
	v_add_f64 v[52:53], v[64:65], v[114:115]
	v_add_f64 v[64:65], v[64:65], -v[114:115]
	v_add_f64 v[66:67], v[66:67], -v[118:119]
	v_mul_f64 v[88:89], v[54:55], s[0:1]
	v_mul_f64 v[114:115], v[54:55], s[8:9]
	;; [unrolled: 1-line block ×5, first 2 shown]
	v_add_f64 v[28:29], v[28:29], v[188:189]
	v_mul_f64 v[80:81], v[66:67], s[2:3]
	v_fma_f64 v[90:91], s[24:25], v[64:65], v[88:89]
	v_fmac_f64_e32 v[88:89], s[2:3], v[64:65]
	v_mul_f64 v[100:101], v[66:67], s[10:11]
	v_fma_f64 v[118:119], s[30:31], v[64:65], v[114:115]
	v_fmac_f64_e32 v[114:115], s[10:11], v[64:65]
	;; [unrolled: 3-line block ×5, first 2 shown]
	v_add_f64 v[30:31], v[30:31], v[190:191]
	v_fma_f64 v[82:83], s[0:1], v[52:53], v[80:81]
	v_add_f64 v[90:91], v[26:27], v[90:91]
	v_fma_f64 v[80:81], v[52:53], s[0:1], -v[80:81]
	v_add_f64 v[88:89], v[26:27], v[88:89]
	v_fma_f64 v[102:103], s[8:9], v[52:53], v[100:101]
	v_add_f64 v[118:119], v[26:27], v[118:119]
	v_fma_f64 v[100:101], v[52:53], s[8:9], -v[100:101]
	;; [unrolled: 4-line block ×5, first 2 shown]
	v_add_f64 v[26:27], v[26:27], v[54:55]
	v_add_f64 v[54:55], v[60:61], v[112:113]
	v_add_f64 v[60:61], v[60:61], -v[112:113]
	v_add_f64 v[82:83], v[24:25], v[82:83]
	v_add_f64 v[80:81], v[24:25], v[80:81]
	;; [unrolled: 1-line block ×11, first 2 shown]
	v_mul_f64 v[64:65], v[60:61], s[10:11]
	v_fma_f64 v[66:67], s[8:9], v[52:53], v[64:65]
	v_add_f64 v[62:63], v[182:183], -v[62:63]
	v_add_f64 v[66:67], v[66:67], v[82:83]
	v_mul_f64 v[82:83], v[54:55], s[8:9]
	v_fma_f64 v[112:113], s[30:31], v[62:63], v[82:83]
	v_fma_f64 v[64:65], v[52:53], s[8:9], -v[64:65]
	v_fmac_f64_e32 v[82:83], s[10:11], v[62:63]
	v_add_f64 v[64:65], v[64:65], v[80:81]
	v_add_f64 v[80:81], v[82:83], v[88:89]
	v_mul_f64 v[82:83], v[60:61], s[20:21]
	v_fma_f64 v[88:89], s[18:19], v[52:53], v[82:83]
	v_add_f64 v[88:89], v[88:89], v[102:103]
	v_mul_f64 v[102:103], v[54:55], s[18:19]
	v_add_f64 v[90:91], v[112:113], v[90:91]
	v_fma_f64 v[112:113], s[36:37], v[62:63], v[102:103]
	v_fma_f64 v[82:83], v[52:53], s[18:19], -v[82:83]
	v_fmac_f64_e32 v[102:103], s[20:21], v[62:63]
	v_add_f64 v[82:83], v[82:83], v[100:101]
	v_add_f64 v[100:101], v[102:103], v[114:115]
	v_mul_f64 v[102:103], v[60:61], s[34:35]
	v_add_f64 v[112:113], v[112:113], v[118:119]
	v_fma_f64 v[114:115], s[22:23], v[52:53], v[102:103]
	v_mul_f64 v[118:119], v[54:55], s[22:23]
	v_fma_f64 v[102:103], v[52:53], s[22:23], -v[102:103]
	v_add_f64 v[114:115], v[114:115], v[128:129]
	v_fma_f64 v[128:129], s[26:27], v[62:63], v[118:119]
	v_add_f64 v[102:103], v[102:103], v[126:127]
	v_fmac_f64_e32 v[118:119], s[34:35], v[62:63]
	v_mul_f64 v[126:127], v[60:61], s[28:29]
	v_add_f64 v[128:129], v[128:129], v[134:135]
	v_add_f64 v[118:119], v[118:119], v[130:131]
	v_fma_f64 v[130:131], s[14:15], v[52:53], v[126:127]
	v_mul_f64 v[134:135], v[54:55], s[14:15]
	v_fma_f64 v[126:127], v[52:53], s[14:15], -v[126:127]
	v_mul_f64 v[60:61], v[60:61], s[24:25]
	v_mul_f64 v[54:55], v[54:55], s[0:1]
	v_add_f64 v[130:131], v[130:131], v[184:185]
	v_fma_f64 v[182:183], s[16:17], v[62:63], v[134:135]
	v_add_f64 v[126:127], v[126:127], v[142:143]
	v_fmac_f64_e32 v[134:135], s[28:29], v[62:63]
	v_fma_f64 v[142:143], s[0:1], v[52:53], v[60:61]
	v_fma_f64 v[184:185], s[2:3], v[62:63], v[54:55]
	v_fma_f64 v[52:53], v[52:53], s[0:1], -v[60:61]
	v_fmac_f64_e32 v[54:55], s[24:25], v[62:63]
	v_add_f64 v[62:63], v[140:141], -v[116:117]
	v_add_f64 v[24:25], v[52:53], v[24:25]
	v_add_f64 v[26:27], v[54:55], v[26:27]
	;; [unrolled: 1-line block ×4, first 2 shown]
	v_mul_f64 v[116:117], v[62:63], s[16:17]
	v_add_f64 v[60:61], v[138:139], -v[122:123]
	v_fma_f64 v[122:123], s[14:15], v[52:53], v[116:117]
	v_add_f64 v[66:67], v[122:123], v[66:67]
	v_mul_f64 v[122:123], v[54:55], s[14:15]
	v_fma_f64 v[116:117], v[52:53], s[14:15], -v[116:117]
	v_fma_f64 v[138:139], s[28:29], v[60:61], v[122:123]
	v_add_f64 v[64:65], v[116:117], v[64:65]
	v_fmac_f64_e32 v[122:123], s[16:17], v[60:61]
	v_mul_f64 v[116:117], v[62:63], s[34:35]
	v_add_f64 v[80:81], v[122:123], v[80:81]
	v_fma_f64 v[122:123], s[22:23], v[52:53], v[116:117]
	v_add_f64 v[88:89], v[122:123], v[88:89]
	v_mul_f64 v[122:123], v[54:55], s[22:23]
	v_fma_f64 v[116:117], v[52:53], s[22:23], -v[116:117]
	v_add_f64 v[90:91], v[138:139], v[90:91]
	v_fma_f64 v[138:139], s[26:27], v[60:61], v[122:123]
	v_add_f64 v[82:83], v[116:117], v[82:83]
	v_fmac_f64_e32 v[122:123], s[34:35], v[60:61]
	v_mul_f64 v[116:117], v[62:63], s[30:31]
	v_add_f64 v[100:101], v[122:123], v[100:101]
	v_fma_f64 v[122:123], s[8:9], v[52:53], v[116:117]
	v_add_f64 v[114:115], v[122:123], v[114:115]
	v_mul_f64 v[122:123], v[54:55], s[8:9]
	v_add_f64 v[112:113], v[138:139], v[112:113]
	v_fma_f64 v[138:139], s[10:11], v[60:61], v[122:123]
	v_fma_f64 v[116:117], v[52:53], s[8:9], -v[116:117]
	v_fmac_f64_e32 v[122:123], s[30:31], v[60:61]
	v_add_f64 v[102:103], v[116:117], v[102:103]
	v_add_f64 v[116:117], v[122:123], v[118:119]
	v_mul_f64 v[118:119], v[62:63], s[2:3]
	v_fma_f64 v[122:123], s[0:1], v[52:53], v[118:119]
	v_add_f64 v[122:123], v[122:123], v[130:131]
	v_mul_f64 v[130:131], v[54:55], s[0:1]
	v_add_f64 v[134:135], v[134:135], v[186:187]
	v_add_f64 v[128:129], v[138:139], v[128:129]
	v_fma_f64 v[138:139], s[24:25], v[60:61], v[130:131]
	v_fma_f64 v[118:119], v[52:53], s[0:1], -v[118:119]
	v_fmac_f64_e32 v[130:131], s[2:3], v[60:61]
	v_mul_f64 v[62:63], v[62:63], s[20:21]
	v_mul_f64 v[54:55], v[54:55], s[18:19]
	v_add_f64 v[118:119], v[118:119], v[126:127]
	v_add_f64 v[126:127], v[130:131], v[134:135]
	v_fma_f64 v[130:131], s[18:19], v[52:53], v[62:63]
	v_fma_f64 v[134:135], s[36:37], v[60:61], v[54:55]
	v_fma_f64 v[52:53], v[52:53], s[18:19], -v[62:63]
	v_fmac_f64_e32 v[54:55], s[20:21], v[60:61]
	v_add_f64 v[62:63], v[132:133], -v[120:121]
	v_add_f64 v[24:25], v[52:53], v[24:25]
	v_add_f64 v[26:27], v[54:55], v[26:27]
	;; [unrolled: 1-line block ×4, first 2 shown]
	v_mul_f64 v[120:121], v[62:63], s[20:21]
	v_add_f64 v[60:61], v[136:137], -v[124:125]
	v_fma_f64 v[124:125], s[18:19], v[52:53], v[120:121]
	v_add_f64 v[66:67], v[124:125], v[66:67]
	v_mul_f64 v[124:125], v[54:55], s[18:19]
	v_fma_f64 v[120:121], v[52:53], s[18:19], -v[120:121]
	v_fma_f64 v[132:133], s[36:37], v[60:61], v[124:125]
	v_add_f64 v[64:65], v[120:121], v[64:65]
	v_fmac_f64_e32 v[124:125], s[20:21], v[60:61]
	v_mul_f64 v[120:121], v[62:63], s[28:29]
	v_add_f64 v[80:81], v[124:125], v[80:81]
	v_fma_f64 v[124:125], s[14:15], v[52:53], v[120:121]
	v_add_f64 v[88:89], v[124:125], v[88:89]
	v_mul_f64 v[124:125], v[54:55], s[14:15]
	v_fma_f64 v[120:121], v[52:53], s[14:15], -v[120:121]
	v_add_f64 v[90:91], v[132:133], v[90:91]
	v_fma_f64 v[132:133], s[16:17], v[60:61], v[124:125]
	v_add_f64 v[82:83], v[120:121], v[82:83]
	v_fmac_f64_e32 v[124:125], s[28:29], v[60:61]
	v_mul_f64 v[120:121], v[62:63], s[2:3]
	v_add_f64 v[100:101], v[124:125], v[100:101]
	v_fma_f64 v[124:125], s[0:1], v[52:53], v[120:121]
	v_add_f64 v[124:125], v[124:125], v[114:115]
	v_mul_f64 v[114:115], v[54:55], s[0:1]
	v_add_f64 v[112:113], v[132:133], v[112:113]
	v_fma_f64 v[132:133], s[24:25], v[60:61], v[114:115]
	v_fmac_f64_e32 v[114:115], s[2:3], v[60:61]
	v_add_f64 v[128:129], v[132:133], v[128:129]
	v_add_f64 v[132:133], v[114:115], v[116:117]
	v_mul_f64 v[114:115], v[62:63], s[26:27]
	v_add_f64 v[142:143], v[142:143], v[190:191]
	v_add_f64 v[184:185], v[184:185], v[192:193]
	v_fma_f64 v[116:117], s[22:23], v[52:53], v[114:115]
	v_fma_f64 v[114:115], v[52:53], s[22:23], -v[114:115]
	v_mul_f64 v[62:63], v[62:63], s[30:31]
	v_add_f64 v[182:183], v[182:183], v[188:189]
	v_add_f64 v[130:131], v[130:131], v[142:143]
	;; [unrolled: 1-line block ×3, first 2 shown]
	v_fma_f64 v[120:121], v[52:53], s[0:1], -v[120:121]
	v_add_f64 v[136:137], v[116:117], v[122:123]
	v_mul_f64 v[116:117], v[54:55], s[22:23]
	v_add_f64 v[140:141], v[114:115], v[118:119]
	v_fma_f64 v[114:115], s[8:9], v[52:53], v[62:63]
	v_mul_f64 v[54:55], v[54:55], s[8:9]
	v_add_f64 v[184:185], v[46:47], -v[50:51]
	v_add_f64 v[138:139], v[138:139], v[182:183]
	v_add_f64 v[102:103], v[120:121], v[102:103]
	v_fma_f64 v[120:121], s[34:35], v[60:61], v[116:117]
	v_fmac_f64_e32 v[116:117], s[26:27], v[60:61]
	v_add_f64 v[142:143], v[114:115], v[130:131]
	v_fma_f64 v[114:115], s[10:11], v[60:61], v[54:55]
	v_fma_f64 v[52:53], v[52:53], s[8:9], -v[62:63]
	v_fmac_f64_e32 v[54:55], s[30:31], v[60:61]
	v_add_f64 v[60:61], v[44:45], v[48:49]
	v_add_f64 v[182:183], v[44:45], -v[48:49]
	v_mul_f64 v[48:49], v[184:185], s[24:25]
	v_add_f64 v[52:53], v[52:53], v[24:25]
	v_add_f64 v[62:63], v[46:47], v[50:51]
	v_mul_f64 v[24:25], v[184:185], s[26:27]
	v_fma_f64 v[50:51], s[0:1], v[60:61], v[48:49]
	v_add_f64 v[126:127], v[116:117], v[126:127]
	v_add_f64 v[54:55], v[54:55], v[26:27]
	v_fma_f64 v[26:27], s[22:23], v[60:61], v[24:25]
	v_fma_f64 v[24:25], v[60:61], s[22:23], -v[24:25]
	v_add_f64 v[116:117], v[50:51], v[88:89]
	v_mul_f64 v[50:51], v[62:63], s[0:1]
	v_add_f64 v[24:25], v[24:25], v[64:65]
	v_fma_f64 v[64:65], s[2:3], v[182:183], v[50:51]
	v_fma_f64 v[48:49], v[60:61], s[0:1], -v[48:49]
	v_add_f64 v[118:119], v[64:65], v[112:113]
	v_add_f64 v[112:113], v[48:49], v[82:83]
	v_fmac_f64_e32 v[50:51], s[24:25], v[182:183]
	v_mul_f64 v[48:49], v[184:185], s[20:21]
	v_add_f64 v[134:135], v[114:115], v[134:135]
	v_add_f64 v[114:115], v[50:51], v[100:101]
	v_fma_f64 v[50:51], s[18:19], v[60:61], v[48:49]
	v_add_f64 v[138:139], v[120:121], v[138:139]
	v_add_f64 v[120:121], v[50:51], v[124:125]
	v_mul_f64 v[50:51], v[62:63], s[18:19]
	v_fma_f64 v[64:65], s[36:37], v[182:183], v[50:51]
	v_add_f64 v[122:123], v[64:65], v[128:129]
	v_mul_f64 v[64:65], v[184:185], s[30:31]
	v_add_f64 v[44:45], v[26:27], v[66:67]
	v_mul_f64 v[26:27], v[62:63], s[22:23]
	v_fma_f64 v[66:67], s[8:9], v[60:61], v[64:65]
	v_fma_f64 v[46:47], s[34:35], v[182:183], v[26:27]
	v_fmac_f64_e32 v[26:27], s[26:27], v[182:183]
	v_add_f64 v[128:129], v[66:67], v[136:137]
	v_mul_f64 v[66:67], v[62:63], s[8:9]
	v_fma_f64 v[64:65], v[60:61], s[8:9], -v[64:65]
	v_add_f64 v[26:27], v[26:27], v[80:81]
	v_fma_f64 v[80:81], s[10:11], v[182:183], v[66:67]
	v_add_f64 v[124:125], v[64:65], v[140:141]
	v_fmac_f64_e32 v[66:67], s[30:31], v[182:183]
	v_mul_f64 v[64:65], v[184:185], s[16:17]
	v_fmac_f64_e32 v[50:51], s[20:21], v[182:183]
	v_add_f64 v[126:127], v[66:67], v[126:127]
	v_fma_f64 v[66:67], s[14:15], v[60:61], v[64:65]
	v_mul_f64 v[62:63], v[62:63], s[14:15]
	v_add_f64 v[50:51], v[50:51], v[132:133]
	v_add_f64 v[132:133], v[66:67], v[142:143]
	v_fma_f64 v[66:67], s[28:29], v[182:183], v[62:63]
	v_fmac_f64_e32 v[62:63], s[16:17], v[182:183]
	v_fma_f64 v[48:49], v[60:61], s[18:19], -v[48:49]
	v_add_f64 v[130:131], v[80:81], v[138:139]
	v_fma_f64 v[60:61], v[60:61], s[14:15], -v[64:65]
	v_add_f64 v[138:139], v[62:63], v[54:55]
	v_add_f64 v[54:55], v[22:23], v[174:175]
	;; [unrolled: 1-line block ×24, first 2 shown]
	v_add_f64 v[60:61], v[172:173], -v[176:177]
	v_add_f64 v[62:63], v[174:175], -v[178:179]
	v_mul_f64 v[80:81], v[54:55], s[0:1]
	v_mul_f64 v[100:101], v[54:55], s[8:9]
	;; [unrolled: 1-line block ×5, first 2 shown]
	v_add_f64 v[48:49], v[48:49], v[102:103]
	v_mul_f64 v[64:65], v[62:63], s[2:3]
	v_fma_f64 v[82:83], s[24:25], v[60:61], v[80:81]
	v_fmac_f64_e32 v[80:81], s[2:3], v[60:61]
	v_mul_f64 v[88:89], v[62:63], s[10:11]
	v_fma_f64 v[102:103], s[30:31], v[60:61], v[100:101]
	v_fmac_f64_e32 v[100:101], s[10:11], v[60:61]
	;; [unrolled: 3-line block ×5, first 2 shown]
	v_add_f64 v[46:47], v[46:47], v[90:91]
	v_add_f64 v[134:135], v[66:67], v[134:135]
	v_fma_f64 v[66:67], s[0:1], v[52:53], v[64:65]
	v_add_f64 v[82:83], v[22:23], v[82:83]
	v_fma_f64 v[64:65], v[52:53], s[0:1], -v[64:65]
	v_add_f64 v[80:81], v[22:23], v[80:81]
	v_fma_f64 v[90:91], s[8:9], v[52:53], v[88:89]
	v_add_f64 v[102:103], v[22:23], v[102:103]
	v_fma_f64 v[88:89], v[52:53], s[8:9], -v[88:89]
	;; [unrolled: 4-line block ×5, first 2 shown]
	v_add_f64 v[22:23], v[22:23], v[54:55]
	v_add_f64 v[54:55], v[58:59], v[170:171]
	v_add_f64 v[58:59], v[58:59], -v[170:171]
	v_add_f64 v[66:67], v[20:21], v[66:67]
	v_add_f64 v[64:65], v[20:21], v[64:65]
	;; [unrolled: 1-line block ×11, first 2 shown]
	v_mul_f64 v[60:61], v[58:59], s[10:11]
	v_fma_f64 v[62:63], s[8:9], v[52:53], v[60:61]
	v_add_f64 v[56:57], v[56:57], -v[168:169]
	v_add_f64 v[62:63], v[62:63], v[66:67]
	v_mul_f64 v[66:67], v[54:55], s[8:9]
	v_fma_f64 v[168:169], s[30:31], v[56:57], v[66:67]
	v_fma_f64 v[60:61], v[52:53], s[8:9], -v[60:61]
	v_fmac_f64_e32 v[66:67], s[10:11], v[56:57]
	v_add_f64 v[60:61], v[60:61], v[64:65]
	v_add_f64 v[64:65], v[66:67], v[80:81]
	v_mul_f64 v[66:67], v[58:59], s[20:21]
	v_fma_f64 v[80:81], s[18:19], v[52:53], v[66:67]
	v_add_f64 v[80:81], v[80:81], v[90:91]
	v_mul_f64 v[90:91], v[54:55], s[18:19]
	v_add_f64 v[82:83], v[168:169], v[82:83]
	v_fma_f64 v[168:169], s[36:37], v[56:57], v[90:91]
	v_fma_f64 v[66:67], v[52:53], s[18:19], -v[66:67]
	v_fmac_f64_e32 v[90:91], s[20:21], v[56:57]
	v_add_f64 v[66:67], v[66:67], v[88:89]
	v_add_f64 v[88:89], v[90:91], v[100:101]
	v_mul_f64 v[90:91], v[58:59], s[34:35]
	v_fma_f64 v[100:101], s[22:23], v[52:53], v[90:91]
	v_fma_f64 v[90:91], v[52:53], s[22:23], -v[90:91]
	v_add_f64 v[102:103], v[168:169], v[102:103]
	v_mul_f64 v[168:169], v[54:55], s[22:23]
	v_add_f64 v[90:91], v[90:91], v[172:173]
	v_mul_f64 v[172:173], v[58:59], s[28:29]
	v_add_f64 v[100:101], v[100:101], v[174:175]
	v_fma_f64 v[170:171], s[26:27], v[56:57], v[168:169]
	v_fmac_f64_e32 v[168:169], s[34:35], v[56:57]
	v_fma_f64 v[174:175], s[14:15], v[52:53], v[172:173]
	v_fma_f64 v[172:173], v[52:53], s[14:15], -v[172:173]
	v_mul_f64 v[58:59], v[58:59], s[24:25]
	v_add_f64 v[168:169], v[168:169], v[176:177]
	v_mul_f64 v[176:177], v[54:55], s[14:15]
	v_add_f64 v[172:173], v[172:173], v[182:183]
	v_fma_f64 v[182:183], s[0:1], v[52:53], v[58:59]
	v_mul_f64 v[54:55], v[54:55], s[0:1]
	v_fma_f64 v[52:53], v[52:53], s[0:1], -v[58:59]
	v_add_f64 v[58:59], v[162:163], -v[166:167]
	v_add_f64 v[170:171], v[170:171], v[178:179]
	v_add_f64 v[174:175], v[174:175], v[184:185]
	v_fma_f64 v[178:179], s[16:17], v[56:57], v[176:177]
	v_fmac_f64_e32 v[176:177], s[28:29], v[56:57]
	v_fma_f64 v[184:185], s[2:3], v[56:57], v[54:55]
	v_add_f64 v[20:21], v[52:53], v[20:21]
	v_fmac_f64_e32 v[54:55], s[24:25], v[56:57]
	v_add_f64 v[52:53], v[160:161], v[164:165]
	v_add_f64 v[56:57], v[160:161], -v[164:165]
	v_mul_f64 v[160:161], v[58:59], s[16:17]
	v_add_f64 v[22:23], v[54:55], v[22:23]
	v_add_f64 v[54:55], v[162:163], v[166:167]
	v_fma_f64 v[162:163], s[14:15], v[52:53], v[160:161]
	v_add_f64 v[62:63], v[162:163], v[62:63]
	v_mul_f64 v[162:163], v[54:55], s[14:15]
	v_fma_f64 v[160:161], v[52:53], s[14:15], -v[160:161]
	v_fma_f64 v[164:165], s[28:29], v[56:57], v[162:163]
	v_add_f64 v[60:61], v[160:161], v[60:61]
	v_fmac_f64_e32 v[162:163], s[16:17], v[56:57]
	v_mul_f64 v[160:161], v[58:59], s[34:35]
	v_add_f64 v[64:65], v[162:163], v[64:65]
	v_fma_f64 v[162:163], s[22:23], v[52:53], v[160:161]
	v_add_f64 v[80:81], v[162:163], v[80:81]
	v_mul_f64 v[162:163], v[54:55], s[22:23]
	v_fma_f64 v[160:161], v[52:53], s[22:23], -v[160:161]
	v_add_f64 v[82:83], v[164:165], v[82:83]
	v_fma_f64 v[164:165], s[26:27], v[56:57], v[162:163]
	v_add_f64 v[66:67], v[160:161], v[66:67]
	v_fmac_f64_e32 v[162:163], s[34:35], v[56:57]
	v_mul_f64 v[160:161], v[58:59], s[30:31]
	v_add_f64 v[88:89], v[162:163], v[88:89]
	v_fma_f64 v[162:163], s[8:9], v[52:53], v[160:161]
	v_add_f64 v[100:101], v[162:163], v[100:101]
	v_mul_f64 v[162:163], v[54:55], s[8:9]
	v_add_f64 v[102:103], v[164:165], v[102:103]
	v_fma_f64 v[164:165], s[10:11], v[56:57], v[162:163]
	v_fma_f64 v[160:161], v[52:53], s[8:9], -v[160:161]
	v_fmac_f64_e32 v[162:163], s[30:31], v[56:57]
	v_add_f64 v[90:91], v[160:161], v[90:91]
	v_add_f64 v[160:161], v[162:163], v[168:169]
	v_mul_f64 v[162:163], v[58:59], s[2:3]
	v_fma_f64 v[166:167], s[0:1], v[52:53], v[162:163]
	v_fma_f64 v[162:163], v[52:53], s[0:1], -v[162:163]
	v_mul_f64 v[58:59], v[58:59], s[20:21]
	v_mul_f64 v[168:169], v[54:55], s[0:1]
	v_add_f64 v[162:163], v[162:163], v[172:173]
	v_fma_f64 v[172:173], s[18:19], v[52:53], v[58:59]
	v_mul_f64 v[54:55], v[54:55], s[18:19]
	v_fma_f64 v[52:53], v[52:53], s[18:19], -v[58:59]
	v_add_f64 v[58:59], v[154:155], -v[158:159]
	v_add_f64 v[164:165], v[164:165], v[170:171]
	v_add_f64 v[166:167], v[166:167], v[174:175]
	v_fma_f64 v[170:171], s[24:25], v[56:57], v[168:169]
	v_fmac_f64_e32 v[168:169], s[2:3], v[56:57]
	v_fma_f64 v[174:175], s[36:37], v[56:57], v[54:55]
	v_add_f64 v[20:21], v[52:53], v[20:21]
	v_fmac_f64_e32 v[54:55], s[20:21], v[56:57]
	v_add_f64 v[52:53], v[152:153], v[156:157]
	v_add_f64 v[56:57], v[152:153], -v[156:157]
	v_mul_f64 v[152:153], v[58:59], s[20:21]
	v_add_f64 v[22:23], v[54:55], v[22:23]
	v_add_f64 v[54:55], v[154:155], v[158:159]
	v_fma_f64 v[154:155], s[18:19], v[52:53], v[152:153]
	v_add_f64 v[62:63], v[154:155], v[62:63]
	v_mul_f64 v[154:155], v[54:55], s[18:19]
	v_fma_f64 v[152:153], v[52:53], s[18:19], -v[152:153]
	v_fma_f64 v[156:157], s[36:37], v[56:57], v[154:155]
	v_add_f64 v[60:61], v[152:153], v[60:61]
	v_fmac_f64_e32 v[154:155], s[20:21], v[56:57]
	v_mul_f64 v[152:153], v[58:59], s[28:29]
	v_add_f64 v[64:65], v[154:155], v[64:65]
	v_fma_f64 v[154:155], s[14:15], v[52:53], v[152:153]
	v_add_f64 v[80:81], v[154:155], v[80:81]
	v_mul_f64 v[154:155], v[54:55], s[14:15]
	v_fma_f64 v[152:153], v[52:53], s[14:15], -v[152:153]
	v_add_f64 v[82:83], v[156:157], v[82:83]
	v_fma_f64 v[156:157], s[16:17], v[56:57], v[154:155]
	v_add_f64 v[66:67], v[152:153], v[66:67]
	v_fmac_f64_e32 v[154:155], s[28:29], v[56:57]
	v_mul_f64 v[152:153], v[58:59], s[2:3]
	v_add_f64 v[88:89], v[154:155], v[88:89]
	v_fma_f64 v[154:155], s[0:1], v[52:53], v[152:153]
	v_add_f64 v[100:101], v[154:155], v[100:101]
	v_mul_f64 v[154:155], v[54:55], s[0:1]
	v_add_f64 v[102:103], v[156:157], v[102:103]
	v_fma_f64 v[156:157], s[24:25], v[56:57], v[154:155]
	v_fma_f64 v[152:153], v[52:53], s[0:1], -v[152:153]
	v_fmac_f64_e32 v[154:155], s[2:3], v[56:57]
	v_add_f64 v[90:91], v[152:153], v[90:91]
	v_add_f64 v[152:153], v[154:155], v[160:161]
	v_mul_f64 v[154:155], v[58:59], s[26:27]
	v_add_f64 v[182:183], v[182:183], v[190:191]
	v_fma_f64 v[158:159], s[22:23], v[52:53], v[154:155]
	v_fma_f64 v[154:155], v[52:53], s[22:23], -v[154:155]
	v_mul_f64 v[58:59], v[58:59], s[30:31]
	v_add_f64 v[176:177], v[176:177], v[186:187]
	v_add_f64 v[172:173], v[172:173], v[182:183]
	v_mul_f64 v[160:161], v[54:55], s[22:23]
	v_add_f64 v[154:155], v[154:155], v[162:163]
	v_fma_f64 v[162:163], s[8:9], v[52:53], v[58:59]
	v_add_f64 v[168:169], v[168:169], v[176:177]
	v_add_f64 v[156:157], v[156:157], v[164:165]
	v_fma_f64 v[164:165], s[34:35], v[56:57], v[160:161]
	v_fmac_f64_e32 v[160:161], s[26:27], v[56:57]
	v_add_f64 v[162:163], v[162:163], v[172:173]
	v_fma_f64 v[52:53], v[52:53], s[8:9], -v[58:59]
	v_add_f64 v[172:173], v[144:145], v[148:149]
	v_add_f64 v[176:177], v[144:145], -v[148:149]
	v_add_f64 v[144:145], v[146:147], -v[150:151]
	v_add_f64 v[184:185], v[184:185], v[192:193]
	v_add_f64 v[160:161], v[160:161], v[168:169]
	v_mul_f64 v[54:55], v[54:55], s[8:9]
	v_add_f64 v[168:169], v[52:53], v[20:21]
	v_mul_f64 v[52:53], v[144:145], s[26:27]
	v_add_f64 v[178:179], v[178:179], v[188:189]
	v_add_f64 v[174:175], v[174:175], v[184:185]
	;; [unrolled: 1-line block ×3, first 2 shown]
	v_fma_f64 v[166:167], s[10:11], v[56:57], v[54:55]
	v_fma_f64 v[20:21], s[22:23], v[172:173], v[52:53]
	v_fma_f64 v[52:53], v[172:173], s[22:23], -v[52:53]
	v_add_f64 v[170:171], v[170:171], v[178:179]
	v_add_f64 v[166:167], v[166:167], v[174:175]
	v_fmac_f64_e32 v[54:55], s[30:31], v[56:57]
	v_add_f64 v[174:175], v[146:147], v[150:151]
	v_add_f64 v[52:53], v[52:53], v[60:61]
	v_mul_f64 v[60:61], v[144:145], s[24:25]
	v_add_f64 v[164:165], v[164:165], v[170:171]
	v_add_f64 v[170:171], v[54:55], v[22:23]
	v_mul_f64 v[54:55], v[174:175], s[22:23]
	v_fma_f64 v[56:57], s[0:1], v[172:173], v[60:61]
	v_add_f64 v[20:21], v[20:21], v[62:63]
	v_fma_f64 v[22:23], s[34:35], v[176:177], v[54:55]
	v_fmac_f64_e32 v[54:55], s[26:27], v[176:177]
	v_add_f64 v[56:57], v[56:57], v[80:81]
	v_mul_f64 v[62:63], v[174:175], s[0:1]
	v_mul_f64 v[80:81], v[144:145], s[20:21]
	v_add_f64 v[54:55], v[54:55], v[64:65]
	v_fma_f64 v[58:59], s[2:3], v[176:177], v[62:63]
	v_fma_f64 v[64:65], s[18:19], v[172:173], v[80:81]
	v_add_f64 v[28:29], v[28:29], v[196:197]
	v_add_f64 v[30:31], v[30:31], v[198:199]
	v_add_f64 v[22:23], v[22:23], v[82:83]
	v_add_f64 v[58:59], v[58:59], v[102:103]
	v_fma_f64 v[60:61], v[172:173], s[0:1], -v[60:61]
	v_fmac_f64_e32 v[62:63], s[24:25], v[176:177]
	v_add_f64 v[64:65], v[64:65], v[100:101]
	v_mul_f64 v[82:83], v[174:175], s[18:19]
	v_fma_f64 v[80:81], v[172:173], s[18:19], -v[80:81]
	v_mul_f64 v[100:101], v[144:145], s[30:31]
	v_mul_f64 v[102:103], v[174:175], s[8:9]
	;; [unrolled: 1-line block ×4, first 2 shown]
	v_add_f64 v[28:29], v[28:29], v[202:203]
	v_add_f64 v[30:31], v[30:31], v[208:209]
	;; [unrolled: 1-line block ×4, first 2 shown]
	v_fma_f64 v[66:67], s[36:37], v[176:177], v[82:83]
	v_add_f64 v[80:81], v[80:81], v[90:91]
	v_fmac_f64_e32 v[82:83], s[20:21], v[176:177]
	v_fma_f64 v[88:89], s[8:9], v[172:173], v[100:101]
	v_fma_f64 v[90:91], s[10:11], v[176:177], v[102:103]
	v_fma_f64 v[100:101], v[172:173], s[8:9], -v[100:101]
	v_fmac_f64_e32 v[102:103], s[30:31], v[176:177]
	v_fma_f64 v[144:145], s[14:15], v[172:173], v[148:149]
	v_fma_f64 v[146:147], s[28:29], v[176:177], v[150:151]
	v_fma_f64 v[148:149], v[172:173], s[14:15], -v[148:149]
	v_fmac_f64_e32 v[150:151], s[16:17], v[176:177]
	v_add_f64 v[66:67], v[66:67], v[156:157]
	v_add_f64 v[82:83], v[82:83], v[152:153]
	;; [unrolled: 1-line block ×10, first 2 shown]
	ds_write_b128 v181, v[28:31]
	ds_write_b128 v181, v[40:43] offset:112
	ds_write_b128 v181, v[72:75] offset:224
	ds_write_b128 v181, v[76:79] offset:336
	ds_write_b128 v181, v[92:95] offset:448
	ds_write_b128 v181, v[96:99] offset:560
	ds_write_b128 v181, v[104:107] offset:672
	ds_write_b128 v181, v[84:87] offset:784
	ds_write_b128 v181, v[68:71] offset:896
	ds_write_b128 v181, v[36:39] offset:1008
	ds_write_b128 v181, v[32:35] offset:1120
	ds_write_b128 v204, v[108:111]
	ds_write_b128 v204, v[44:47] offset:112
	ds_write_b128 v204, v[116:119] offset:224
	ds_write_b128 v204, v[120:123] offset:336
	ds_write_b128 v204, v[128:131] offset:448
	ds_write_b128 v204, v[132:135] offset:560
	ds_write_b128 v204, v[136:139] offset:672
	ds_write_b128 v204, v[124:127] offset:784
	ds_write_b128 v204, v[48:51] offset:896
	ds_write_b128 v204, v[112:115] offset:1008
	ds_write_b128 v204, v[24:27] offset:1120
	;; [unrolled: 11-line block ×3, first 2 shown]
	s_and_saveexec_b64 s[36:37], vcc
	s_cbranch_execz .LBB0_9
; %bb.8:
	scratch_load_dwordx4 v[28:31], off, off offset:1000 ; 16-byte Folded Reload
	scratch_load_dwordx4 v[24:27], off, off offset:1032 ; 16-byte Folded Reload
	v_accvgpr_read_b32 v36, a102
	v_accvgpr_read_b32 v37, a103
	;; [unrolled: 1-line block ×36, first 2 shown]
	scratch_load_dwordx4 v[64:67], off, off offset:952 ; 16-byte Folded Reload
	s_waitcnt vmcnt(2)
	v_mul_f64 v[32:33], v[30:31], v[38:39]
	v_mul_f64 v[22:23], v[30:31], v[36:37]
	v_fmac_f64_e32 v[32:33], v[28:29], v[36:37]
	s_waitcnt vmcnt(1)
	v_mul_f64 v[34:35], v[26:27], v[44:45]
	v_fma_f64 v[40:41], v[28:29], v[38:39], -v[22:23]
	v_mul_f64 v[22:23], v[26:27], v[42:43]
	scratch_load_dwordx4 v[28:31], off, off offset:936 ; 16-byte Folded Reload
	v_fmac_f64_e32 v[34:35], v[24:25], v[42:43]
	v_fma_f64 v[42:43], v[24:25], v[44:45], -v[22:23]
	scratch_load_dwordx4 v[44:47], off, off offset:984 ; 16-byte Folded Reload
	v_add_f64 v[78:79], v[32:33], -v[34:35]
	v_mul_f64 v[20:21], v[78:79], s[16:17]
	v_add_f64 v[62:63], v[40:41], v[42:43]
	v_fma_f64 v[22:23], s[14:15], v[62:63], v[20:21]
	v_add_f64 v[102:103], v[40:41], -v[42:43]
	v_fma_f64 v[20:21], v[62:63], s[14:15], -v[20:21]
	s_waitcnt vmcnt(1)
	v_mul_f64 v[26:27], v[30:31], v[48:49]
	v_mul_f64 v[36:37], v[30:31], v[50:51]
	v_fma_f64 v[50:51], v[28:29], v[50:51], -v[26:27]
	s_waitcnt vmcnt(0)
	v_mul_f64 v[38:39], v[46:47], v[54:55]
	v_mul_f64 v[26:27], v[46:47], v[52:53]
	v_fmac_f64_e32 v[36:37], v[28:29], v[48:49]
	v_fmac_f64_e32 v[38:39], v[44:45], v[52:53]
	v_fma_f64 v[48:49], v[44:45], v[54:55], -v[26:27]
	scratch_load_dwordx4 v[52:55], off, off offset:920 ; 16-byte Folded Reload
	v_add_f64 v[82:83], v[36:37], -v[38:39]
	v_mul_f64 v[24:25], v[82:83], s[30:31]
	v_add_f64 v[70:71], v[50:51], v[48:49]
	v_fma_f64 v[26:27], s[8:9], v[70:71], v[24:25]
	v_add_f64 v[104:105], v[50:51], -v[48:49]
	v_mul_f64 v[44:45], v[66:67], v[74:75]
	v_fmac_f64_e32 v[44:45], v[64:65], v[72:73]
	s_waitcnt vmcnt(0)
	v_mul_f64 v[30:31], v[54:55], v[56:57]
	v_mul_f64 v[46:47], v[54:55], v[58:59]
	v_fma_f64 v[58:59], v[52:53], v[58:59], -v[30:31]
	v_mul_f64 v[30:31], v[66:67], v[72:73]
	v_fmac_f64_e32 v[46:47], v[52:53], v[56:57]
	v_fma_f64 v[56:57], v[64:65], v[74:75], -v[30:31]
	scratch_load_dwordx4 v[64:67], off, off offset:904 ; 16-byte Folded Reload
	scratch_load_dwordx4 v[72:75], off, off offset:1016 ; 16-byte Folded Reload
	v_add_f64 v[84:85], v[46:47], -v[44:45]
	v_mul_f64 v[28:29], v[84:85], s[20:21]
	v_add_f64 v[76:77], v[58:59], v[56:57]
	v_fma_f64 v[30:31], s[18:19], v[76:77], v[28:29]
	v_add_f64 v[106:107], v[58:59], -v[56:57]
	v_mul_f64 v[112:113], v[106:107], s[20:21]
	s_waitcnt vmcnt(1)
	v_mul_f64 v[60:61], v[66:67], v[86:87]
	s_waitcnt vmcnt(0)
	v_mul_f64 v[52:53], v[74:75], v[92:93]
	v_fma_f64 v[68:69], v[64:65], v[88:89], -v[60:61]
	v_mul_f64 v[60:61], v[74:75], v[90:91]
	v_mul_f64 v[54:55], v[66:67], v[88:89]
	v_fmac_f64_e32 v[52:53], v[72:73], v[90:91]
	v_fma_f64 v[66:67], v[72:73], v[92:93], -v[60:61]
	scratch_load_dwordx4 v[72:75], off, off offset:888 ; 16-byte Folded Reload
	scratch_load_dwordx4 v[90:93], off, off offset:968 ; 16-byte Folded Reload
	v_fmac_f64_e32 v[54:55], v[64:65], v[86:87]
	v_add_f64 v[98:99], v[54:55], -v[52:53]
	v_mul_f64 v[108:109], v[98:99], s[24:25]
	v_add_f64 v[80:81], v[68:69], v[66:67]
	v_fma_f64 v[88:89], s[0:1], v[80:81], v[108:109]
	v_add_f64 v[124:125], v[68:69], -v[66:67]
	v_mul_f64 v[116:117], v[124:125], s[24:25]
	v_mul_f64 v[128:129], v[124:125], s[28:29]
	;; [unrolled: 1-line block ×5, first 2 shown]
	s_waitcnt vmcnt(1)
	v_mul_f64 v[64:65], v[74:75], v[18:19]
	v_fmac_f64_e32 v[64:65], v[72:73], v[16:17]
	s_waitcnt vmcnt(0)
	v_mul_f64 v[60:61], v[92:93], v[96:97]
	v_mul_f64 v[16:17], v[74:75], v[16:17]
	v_fmac_f64_e32 v[60:61], v[90:91], v[94:95]
	v_fma_f64 v[74:75], v[72:73], v[18:19], -v[16:17]
	v_mul_f64 v[16:17], v[92:93], v[94:95]
	v_add_f64 v[100:101], v[64:65], -v[60:61]
	v_fma_f64 v[72:73], v[90:91], v[96:97], -v[16:17]
	v_mul_f64 v[110:111], v[100:101], s[26:27]
	v_add_f64 v[86:87], v[74:75], v[72:73]
	v_fma_f64 v[16:17], s[22:23], v[86:87], v[110:111]
	v_add_f64 v[126:127], v[74:75], -v[72:73]
	v_add_f64 v[16:17], v[14:15], v[16:17]
	v_add_f64 v[96:97], v[64:65], v[60:61]
	v_mul_f64 v[120:121], v[126:127], s[26:27]
	v_add_f64 v[16:17], v[88:89], v[16:17]
	v_add_f64 v[94:95], v[54:55], v[52:53]
	v_fma_f64 v[122:123], v[96:97], s[22:23], -v[120:121]
	v_add_f64 v[16:17], v[30:31], v[16:17]
	v_add_f64 v[92:93], v[46:47], v[44:45]
	v_fma_f64 v[118:119], v[94:95], s[0:1], -v[116:117]
	v_add_f64 v[122:123], v[12:13], v[122:123]
	v_add_f64 v[16:17], v[26:27], v[16:17]
	;; [unrolled: 1-line block ×3, first 2 shown]
	v_mul_f64 v[30:31], v[104:105], s[30:31]
	v_fma_f64 v[114:115], v[92:93], s[18:19], -v[112:113]
	v_add_f64 v[118:119], v[118:119], v[122:123]
	v_add_f64 v[18:19], v[22:23], v[16:17]
	;; [unrolled: 1-line block ×3, first 2 shown]
	v_mul_f64 v[26:27], v[102:103], s[16:17]
	v_fma_f64 v[22:23], v[90:91], s[8:9], -v[30:31]
	v_add_f64 v[114:115], v[114:115], v[118:119]
	v_fma_f64 v[16:17], v[88:89], s[14:15], -v[26:27]
	v_add_f64 v[22:23], v[22:23], v[114:115]
	v_add_f64 v[16:17], v[16:17], v[22:23]
	v_fma_f64 v[22:23], v[70:71], s[8:9], -v[24:25]
	v_fma_f64 v[24:25], v[76:77], s[18:19], -v[28:29]
	;; [unrolled: 1-line block ×4, first 2 shown]
	v_add_f64 v[108:109], v[14:15], v[108:109]
	v_add_f64 v[28:29], v[28:29], v[108:109]
	;; [unrolled: 1-line block ×4, first 2 shown]
	v_fmac_f64_e32 v[120:121], s[22:23], v[96:97]
	v_add_f64 v[22:23], v[20:21], v[22:23]
	v_fmac_f64_e32 v[116:117], s[0:1], v[94:95]
	v_add_f64 v[20:21], v[12:13], v[120:121]
	;; [unrolled: 2-line block ×3, first 2 shown]
	v_mul_f64 v[116:117], v[100:101], s[20:21]
	v_add_f64 v[20:21], v[112:113], v[20:21]
	v_mul_f64 v[112:113], v[98:99], s[28:29]
	v_fma_f64 v[118:119], s[18:19], v[86:87], v[116:117]
	v_fma_f64 v[116:117], v[86:87], s[18:19], -v[116:117]
	v_fmac_f64_e32 v[30:31], s[8:9], v[90:91]
	v_mul_f64 v[108:109], v[84:85], s[2:3]
	v_fma_f64 v[114:115], s[14:15], v[80:81], v[112:113]
	v_fma_f64 v[112:113], v[80:81], s[14:15], -v[112:113]
	v_add_f64 v[116:117], v[14:15], v[116:117]
	v_fmac_f64_e32 v[26:27], s[14:15], v[88:89]
	v_add_f64 v[20:21], v[30:31], v[20:21]
	v_mul_f64 v[30:31], v[82:83], s[26:27]
	v_fma_f64 v[110:111], s[0:1], v[76:77], v[108:109]
	v_fma_f64 v[108:109], v[76:77], s[0:1], -v[108:109]
	v_add_f64 v[112:113], v[112:113], v[116:117]
	v_add_f64 v[20:21], v[26:27], v[20:21]
	v_mul_f64 v[28:29], v[78:79], s[30:31]
	v_fma_f64 v[26:27], s[22:23], v[70:71], v[30:31]
	v_mul_f64 v[132:133], v[126:127], s[20:21]
	v_fma_f64 v[30:31], v[70:71], s[22:23], -v[30:31]
	v_add_f64 v[108:109], v[108:109], v[112:113]
	v_fma_f64 v[24:25], s[8:9], v[62:63], v[28:29]
	v_add_f64 v[118:119], v[14:15], v[118:119]
	v_fma_f64 v[134:135], v[96:97], s[18:19], -v[132:133]
	v_fma_f64 v[28:29], v[62:63], s[8:9], -v[28:29]
	v_add_f64 v[30:31], v[30:31], v[108:109]
	v_fmac_f64_e32 v[132:133], s[18:19], v[96:97]
	v_add_f64 v[114:115], v[114:115], v[118:119]
	v_mul_f64 v[120:121], v[106:107], s[2:3]
	v_fma_f64 v[130:131], v[94:95], s[14:15], -v[128:129]
	v_add_f64 v[134:135], v[12:13], v[134:135]
	v_add_f64 v[30:31], v[28:29], v[30:31]
	v_fmac_f64_e32 v[128:129], s[14:15], v[94:95]
	v_add_f64 v[28:29], v[12:13], v[132:133]
	v_add_f64 v[110:111], v[110:111], v[114:115]
	v_mul_f64 v[114:115], v[104:105], s[26:27]
	v_fma_f64 v[122:123], v[92:93], s[0:1], -v[120:121]
	v_add_f64 v[130:131], v[130:131], v[134:135]
	v_fmac_f64_e32 v[120:121], s[0:1], v[92:93]
	v_add_f64 v[28:29], v[128:129], v[28:29]
	v_mul_f64 v[128:129], v[100:101], s[16:17]
	v_add_f64 v[26:27], v[26:27], v[110:111]
	v_mul_f64 v[110:111], v[102:103], s[30:31]
	v_fma_f64 v[118:119], v[90:91], s[22:23], -v[114:115]
	v_add_f64 v[122:123], v[122:123], v[130:131]
	v_add_f64 v[28:29], v[120:121], v[28:29]
	v_mul_f64 v[120:121], v[98:99], s[34:35]
	v_fma_f64 v[130:131], s[14:15], v[86:87], v[128:129]
	v_fma_f64 v[128:129], v[86:87], s[14:15], -v[128:129]
	v_add_f64 v[26:27], v[24:25], v[26:27]
	v_fma_f64 v[24:25], v[88:89], s[8:9], -v[110:111]
	v_add_f64 v[118:119], v[118:119], v[122:123]
	v_fmac_f64_e32 v[114:115], s[22:23], v[90:91]
	v_mul_f64 v[116:117], v[84:85], s[30:31]
	v_fma_f64 v[122:123], s[22:23], v[80:81], v[120:121]
	v_fma_f64 v[120:121], v[80:81], s[22:23], -v[120:121]
	v_add_f64 v[128:129], v[14:15], v[128:129]
	v_add_f64 v[24:25], v[24:25], v[118:119]
	v_fmac_f64_e32 v[110:111], s[8:9], v[88:89]
	v_add_f64 v[28:29], v[114:115], v[28:29]
	v_mul_f64 v[114:115], v[82:83], s[2:3]
	v_fma_f64 v[118:119], s[8:9], v[76:77], v[116:117]
	v_fma_f64 v[116:117], v[76:77], s[8:9], -v[116:117]
	v_add_f64 v[120:121], v[120:121], v[128:129]
	v_add_f64 v[28:29], v[110:111], v[28:29]
	v_mul_f64 v[112:113], v[78:79], s[20:21]
	v_fma_f64 v[110:111], s[0:1], v[70:71], v[114:115]
	v_mul_f64 v[140:141], v[126:127], s[16:17]
	v_fma_f64 v[114:115], v[70:71], s[0:1], -v[114:115]
	v_add_f64 v[116:117], v[116:117], v[120:121]
	v_fma_f64 v[108:109], s[18:19], v[62:63], v[112:113]
	v_add_f64 v[130:131], v[14:15], v[130:131]
	v_fma_f64 v[142:143], v[96:97], s[14:15], -v[140:141]
	v_fma_f64 v[112:113], v[62:63], s[18:19], -v[112:113]
	v_add_f64 v[114:115], v[114:115], v[116:117]
	v_fmac_f64_e32 v[140:141], s[14:15], v[96:97]
	v_add_f64 v[122:123], v[122:123], v[130:131]
	v_mul_f64 v[132:133], v[106:107], s[30:31]
	v_fma_f64 v[138:139], v[94:95], s[22:23], -v[136:137]
	v_add_f64 v[142:143], v[12:13], v[142:143]
	v_add_f64 v[114:115], v[112:113], v[114:115]
	v_fmac_f64_e32 v[136:137], s[22:23], v[94:95]
	v_add_f64 v[112:113], v[12:13], v[140:141]
	v_add_f64 v[118:119], v[118:119], v[122:123]
	v_mul_f64 v[122:123], v[104:105], s[2:3]
	v_fma_f64 v[134:135], v[92:93], s[8:9], -v[132:133]
	v_add_f64 v[138:139], v[138:139], v[142:143]
	v_fmac_f64_e32 v[132:133], s[8:9], v[92:93]
	v_add_f64 v[112:113], v[136:137], v[112:113]
	v_mul_f64 v[136:137], v[100:101], s[10:11]
	v_add_f64 v[110:111], v[110:111], v[118:119]
	v_mul_f64 v[118:119], v[102:103], s[20:21]
	v_fma_f64 v[130:131], v[90:91], s[0:1], -v[122:123]
	v_add_f64 v[134:135], v[134:135], v[138:139]
	v_add_f64 v[112:113], v[132:133], v[112:113]
	v_mul_f64 v[132:133], v[98:99], s[20:21]
	v_fma_f64 v[138:139], s[8:9], v[86:87], v[136:137]
	v_fma_f64 v[136:137], v[86:87], s[8:9], -v[136:137]
	v_add_f64 v[110:111], v[108:109], v[110:111]
	v_fma_f64 v[108:109], v[88:89], s[18:19], -v[118:119]
	v_add_f64 v[130:131], v[130:131], v[134:135]
	v_fmac_f64_e32 v[122:123], s[0:1], v[90:91]
	v_mul_f64 v[128:129], v[84:85], s[34:35]
	v_fma_f64 v[134:135], s[18:19], v[80:81], v[132:133]
	v_fma_f64 v[132:133], v[80:81], s[18:19], -v[132:133]
	v_add_f64 v[136:137], v[14:15], v[136:137]
	v_add_f64 v[108:109], v[108:109], v[130:131]
	v_fmac_f64_e32 v[118:119], s[18:19], v[88:89]
	v_add_f64 v[112:113], v[122:123], v[112:113]
	v_mul_f64 v[122:123], v[82:83], s[28:29]
	v_fma_f64 v[130:131], s[22:23], v[76:77], v[128:129]
	v_fma_f64 v[128:129], v[76:77], s[22:23], -v[128:129]
	v_add_f64 v[132:133], v[132:133], v[136:137]
	v_add_f64 v[112:113], v[118:119], v[112:113]
	v_mul_f64 v[120:121], v[78:79], s[24:25]
	v_fma_f64 v[118:119], s[14:15], v[70:71], v[122:123]
	v_mul_f64 v[148:149], v[126:127], s[10:11]
	v_fma_f64 v[122:123], v[70:71], s[14:15], -v[122:123]
	v_add_f64 v[128:129], v[128:129], v[132:133]
	v_fma_f64 v[116:117], s[0:1], v[62:63], v[120:121]
	v_add_f64 v[138:139], v[14:15], v[138:139]
	v_fma_f64 v[150:151], v[96:97], s[8:9], -v[148:149]
	v_fma_f64 v[120:121], v[62:63], s[0:1], -v[120:121]
	v_add_f64 v[122:123], v[122:123], v[128:129]
	v_fmac_f64_e32 v[148:149], s[8:9], v[96:97]
	v_add_f64 v[134:135], v[134:135], v[138:139]
	v_mul_f64 v[140:141], v[106:107], s[34:35]
	v_fma_f64 v[146:147], v[94:95], s[18:19], -v[144:145]
	v_add_f64 v[122:123], v[120:121], v[122:123]
	v_fmac_f64_e32 v[144:145], s[18:19], v[94:95]
	v_add_f64 v[120:121], v[12:13], v[148:149]
	v_add_f64 v[130:131], v[130:131], v[134:135]
	v_mul_f64 v[134:135], v[104:105], s[28:29]
	v_fma_f64 v[142:143], v[92:93], s[22:23], -v[140:141]
	v_fmac_f64_e32 v[140:141], s[22:23], v[92:93]
	v_add_f64 v[120:121], v[144:145], v[120:121]
	v_fma_f64 v[138:139], v[90:91], s[14:15], -v[134:135]
	v_fmac_f64_e32 v[134:135], s[14:15], v[90:91]
	v_add_f64 v[120:121], v[140:141], v[120:121]
	v_mul_f64 v[78:79], v[78:79], s[26:27]
	v_mul_f64 v[98:99], v[98:99], s[10:11]
	;; [unrolled: 1-line block ×3, first 2 shown]
	v_add_f64 v[118:119], v[118:119], v[130:131]
	v_mul_f64 v[130:131], v[102:103], s[24:25]
	v_add_f64 v[150:151], v[12:13], v[150:151]
	v_add_f64 v[120:121], v[134:135], v[120:121]
	v_fma_f64 v[128:129], s[22:23], v[62:63], v[78:79]
	v_fma_f64 v[134:135], s[8:9], v[80:81], v[98:99]
	v_fma_f64 v[62:63], v[62:63], s[22:23], -v[78:79]
	v_fma_f64 v[78:79], v[80:81], s[8:9], -v[98:99]
	;; [unrolled: 1-line block ×3, first 2 shown]
	v_add_f64 v[118:119], v[116:117], v[118:119]
	v_fma_f64 v[116:117], v[88:89], s[0:1], -v[130:131]
	v_add_f64 v[146:147], v[146:147], v[150:151]
	v_fmac_f64_e32 v[130:131], s[0:1], v[88:89]
	v_mul_f64 v[132:133], v[84:85], s[16:17]
	v_add_f64 v[80:81], v[14:15], v[80:81]
	v_add_f64 v[142:143], v[142:143], v[146:147]
	;; [unrolled: 1-line block ×3, first 2 shown]
	v_mul_f64 v[130:131], v[82:83], s[20:21]
	v_fma_f64 v[84:85], s[14:15], v[76:77], v[132:133]
	v_fma_f64 v[76:77], v[76:77], s[14:15], -v[132:133]
	v_add_f64 v[78:79], v[78:79], v[80:81]
	v_add_f64 v[138:139], v[138:139], v[142:143]
	v_fma_f64 v[82:83], s[18:19], v[70:71], v[130:131]
	v_mul_f64 v[126:127], v[126:127], s[2:3]
	v_fma_f64 v[70:71], v[70:71], s[18:19], -v[130:131]
	v_add_f64 v[76:77], v[76:77], v[78:79]
	v_add_f64 v[116:117], v[116:117], v[138:139]
	v_fma_f64 v[138:139], v[96:97], s[0:1], -v[126:127]
	v_add_f64 v[70:71], v[70:71], v[76:77]
	v_fmac_f64_e32 v[126:127], s[0:1], v[96:97]
	v_add_f64 v[138:139], v[12:13], v[138:139]
	v_add_f64 v[78:79], v[62:63], v[70:71]
	;; [unrolled: 1-line block ×8, first 2 shown]
	scratch_load_dword v32, off, off offset:224 ; 4-byte Folded Reload
	scratch_load_dword v33, off, off offset:228 ; 4-byte Folded Reload
	v_fma_f64 v[136:137], s[0:1], v[86:87], v[100:101]
	v_add_f64 v[136:137], v[14:15], v[136:137]
	v_add_f64 v[14:15], v[14:15], v[74:75]
	;; [unrolled: 1-line block ×10, first 2 shown]
	v_mul_f64 v[106:107], v[106:107], s[16:17]
	v_fma_f64 v[136:137], v[94:95], s[8:9], -v[124:125]
	v_fmac_f64_e32 v[124:125], s[8:9], v[94:95]
	v_add_f64 v[14:15], v[14:15], v[48:49]
	v_add_f64 v[12:13], v[12:13], v[38:39]
	;; [unrolled: 1-line block ×3, first 2 shown]
	v_mul_f64 v[104:105], v[104:105], s[20:21]
	v_fma_f64 v[134:135], v[92:93], s[14:15], -v[106:107]
	v_add_f64 v[136:137], v[136:137], v[138:139]
	v_fmac_f64_e32 v[106:107], s[14:15], v[92:93]
	v_add_f64 v[62:63], v[124:125], v[62:63]
	v_add_f64 v[14:15], v[14:15], v[56:57]
	;; [unrolled: 1-line block ×4, first 2 shown]
	v_mul_f64 v[102:103], v[102:103], s[26:27]
	v_fma_f64 v[128:129], v[90:91], s[18:19], -v[104:105]
	v_add_f64 v[134:135], v[134:135], v[136:137]
	v_fmac_f64_e32 v[104:105], s[18:19], v[90:91]
	v_add_f64 v[62:63], v[106:107], v[62:63]
	v_add_f64 v[14:15], v[14:15], v[66:67]
	;; [unrolled: 1-line block ×3, first 2 shown]
	v_fma_f64 v[82:83], v[88:89], s[22:23], -v[102:103]
	v_add_f64 v[128:129], v[128:129], v[134:135]
	v_fmac_f64_e32 v[102:103], s[22:23], v[88:89]
	v_add_f64 v[62:63], v[104:105], v[62:63]
	v_add_f64 v[14:15], v[14:15], v[72:73]
	;; [unrolled: 1-line block ×5, first 2 shown]
	s_waitcnt vmcnt(1)
	v_mul_u32_u24_e32 v32, 0x4d, v32
	s_waitcnt vmcnt(0)
	v_add_lshl_u32 v32, v32, v33, 4
	ds_write_b128 v32, v[12:15]
	ds_write_b128 v32, v[76:79] offset:112
	ds_write_b128 v32, v[120:123] offset:224
	;; [unrolled: 1-line block ×10, first 2 shown]
.LBB0_9:
	s_or_b64 exec, exec, s[36:37]
	s_waitcnt lgkmcnt(0)
	; wave barrier
	s_waitcnt lgkmcnt(0)
	ds_read_b128 v[16:19], v180 offset:6160
	ds_read_b128 v[12:15], v180 offset:5280
	v_accvgpr_read_b32 v20, a90
	v_accvgpr_read_b32 v22, a92
	v_accvgpr_read_b32 v23, a93
	v_accvgpr_read_b32 v21, a91
	s_waitcnt lgkmcnt(1)
	v_mul_f64 v[170:171], v[22:23], v[18:19]
	v_fmac_f64_e32 v[170:171], v[20:21], v[16:17]
	v_mul_f64 v[16:17], v[22:23], v[16:17]
	v_fma_f64 v[168:169], v[20:21], v[18:19], -v[16:17]
	ds_read_b128 v[16:19], v180 offset:12320
	ds_read_b128 v[20:23], v180 offset:13200
	v_accvgpr_read_b32 v24, a86
	v_accvgpr_read_b32 v26, a88
	v_accvgpr_read_b32 v27, a89
	v_accvgpr_read_b32 v25, a87
	s_waitcnt lgkmcnt(1)
	v_mul_f64 v[174:175], v[26:27], v[18:19]
	v_fmac_f64_e32 v[174:175], v[24:25], v[16:17]
	v_mul_f64 v[16:17], v[26:27], v[16:17]
	v_fma_f64 v[172:173], v[24:25], v[18:19], -v[16:17]
	ds_read_b128 v[16:19], v180 offset:18480
	ds_read_b128 v[24:27], v180 offset:17600
	v_accvgpr_read_b32 v28, a82
	v_accvgpr_read_b32 v30, a84
	v_accvgpr_read_b32 v31, a85
	v_accvgpr_read_b32 v29, a83
	s_waitcnt lgkmcnt(1)
	v_mul_f64 v[178:179], v[30:31], v[18:19]
	v_fmac_f64_e32 v[178:179], v[28:29], v[16:17]
	v_mul_f64 v[16:17], v[30:31], v[16:17]
	v_fma_f64 v[176:177], v[28:29], v[18:19], -v[16:17]
	ds_read_b128 v[16:19], v180 offset:24640
	ds_read_b128 v[28:31], v180 offset:25520
	v_accvgpr_read_b32 v32, a98
	v_accvgpr_read_b32 v34, a100
	v_accvgpr_read_b32 v35, a101
	v_accvgpr_read_b32 v33, a99
	s_waitcnt lgkmcnt(1)
	v_mul_f64 v[56:57], v[34:35], v[18:19]
	v_fmac_f64_e32 v[56:57], v[32:33], v[16:17]
	v_mul_f64 v[16:17], v[34:35], v[16:17]
	v_fma_f64 v[182:183], v[32:33], v[18:19], -v[16:17]
	ds_read_b128 v[16:19], v180 offset:7040
	ds_read_b128 v[32:35], v180 offset:7920
	v_accvgpr_read_b32 v36, a106
	v_accvgpr_read_b32 v38, a108
	v_accvgpr_read_b32 v39, a109
	v_accvgpr_read_b32 v37, a107
	s_waitcnt lgkmcnt(1)
	v_mul_f64 v[154:155], v[38:39], v[18:19]
	v_fmac_f64_e32 v[154:155], v[36:37], v[16:17]
	v_mul_f64 v[16:17], v[38:39], v[16:17]
	v_fma_f64 v[152:153], v[36:37], v[18:19], -v[16:17]
	v_accvgpr_read_b32 v36, a110
	v_accvgpr_read_b32 v38, a112
	;; [unrolled: 1-line block ×4, first 2 shown]
	v_mul_f64 v[158:159], v[38:39], v[22:23]
	v_mul_f64 v[16:17], v[38:39], v[20:21]
	v_fmac_f64_e32 v[158:159], v[36:37], v[20:21]
	v_fma_f64 v[156:157], v[36:37], v[22:23], -v[16:17]
	ds_read_b128 v[16:19], v180 offset:19360
	ds_read_b128 v[20:23], v180 offset:20240
	v_accvgpr_read_b32 v36, a122
	v_accvgpr_read_b32 v38, a124
	;; [unrolled: 1-line block ×4, first 2 shown]
	s_waitcnt lgkmcnt(1)
	v_mul_f64 v[162:163], v[38:39], v[18:19]
	v_fmac_f64_e32 v[162:163], v[36:37], v[16:17]
	v_mul_f64 v[16:17], v[38:39], v[16:17]
	v_fma_f64 v[160:161], v[36:37], v[18:19], -v[16:17]
	v_accvgpr_read_b32 v36, a118
	v_accvgpr_read_b32 v38, a120
	;; [unrolled: 1-line block ×4, first 2 shown]
	v_mul_f64 v[166:167], v[38:39], v[30:31]
	v_mul_f64 v[16:17], v[38:39], v[28:29]
	v_fmac_f64_e32 v[166:167], v[36:37], v[28:29]
	v_fma_f64 v[164:165], v[36:37], v[30:31], -v[16:17]
	v_accvgpr_read_b32 v28, a130
	v_accvgpr_read_b32 v30, a132
	;; [unrolled: 1-line block ×4, first 2 shown]
	v_mul_f64 v[138:139], v[30:31], v[34:35]
	v_mul_f64 v[16:17], v[30:31], v[32:33]
	v_fmac_f64_e32 v[138:139], v[28:29], v[32:33]
	v_fma_f64 v[136:137], v[28:29], v[34:35], -v[16:17]
	ds_read_b128 v[16:19], v180 offset:14080
	ds_read_b128 v[28:31], v180 offset:14960
	v_accvgpr_read_b32 v32, a126
	v_accvgpr_read_b32 v34, a128
	;; [unrolled: 1-line block ×4, first 2 shown]
	s_waitcnt lgkmcnt(1)
	v_mul_f64 v[142:143], v[34:35], v[18:19]
	v_fmac_f64_e32 v[142:143], v[32:33], v[16:17]
	v_mul_f64 v[16:17], v[34:35], v[16:17]
	v_fma_f64 v[140:141], v[32:33], v[18:19], -v[16:17]
	v_accvgpr_read_b32 v32, a174
	v_accvgpr_read_b32 v34, a176
	;; [unrolled: 1-line block ×4, first 2 shown]
	v_mul_f64 v[146:147], v[34:35], v[22:23]
	v_mul_f64 v[16:17], v[34:35], v[20:21]
	v_fmac_f64_e32 v[146:147], v[32:33], v[20:21]
	v_fma_f64 v[144:145], v[32:33], v[22:23], -v[16:17]
	ds_read_b128 v[16:19], v180 offset:26400
	ds_read_b128 v[20:23], v180 offset:27280
	v_accvgpr_read_b32 v32, a158
	v_accvgpr_read_b32 v34, a160
	;; [unrolled: 1-line block ×4, first 2 shown]
	s_waitcnt lgkmcnt(1)
	v_mul_f64 v[150:151], v[34:35], v[18:19]
	v_fmac_f64_e32 v[150:151], v[32:33], v[16:17]
	v_mul_f64 v[16:17], v[34:35], v[16:17]
	v_fma_f64 v[148:149], v[32:33], v[18:19], -v[16:17]
	ds_read_b128 v[16:19], v180 offset:8800
	ds_read_b128 v[32:35], v180 offset:9680
	v_accvgpr_read_b32 v36, a146
	v_accvgpr_read_b32 v38, a148
	;; [unrolled: 1-line block ×4, first 2 shown]
	s_waitcnt lgkmcnt(1)
	v_mul_f64 v[122:123], v[38:39], v[18:19]
	v_fmac_f64_e32 v[122:123], v[36:37], v[16:17]
	v_mul_f64 v[16:17], v[38:39], v[16:17]
	v_fma_f64 v[120:121], v[36:37], v[18:19], -v[16:17]
	v_accvgpr_read_b32 v36, a150
	v_accvgpr_read_b32 v38, a152
	;; [unrolled: 1-line block ×4, first 2 shown]
	v_mul_f64 v[126:127], v[38:39], v[30:31]
	v_mul_f64 v[16:17], v[38:39], v[28:29]
	v_fmac_f64_e32 v[126:127], v[36:37], v[28:29]
	v_fma_f64 v[124:125], v[36:37], v[30:31], -v[16:17]
	ds_read_b128 v[16:19], v180 offset:21120
	ds_read_b128 v[28:31], v180 offset:22000
	v_accvgpr_read_b32 v36, a138
	v_accvgpr_read_b32 v38, a140
	;; [unrolled: 1-line block ×4, first 2 shown]
	s_waitcnt lgkmcnt(1)
	v_mul_f64 v[130:131], v[38:39], v[18:19]
	v_fmac_f64_e32 v[130:131], v[36:37], v[16:17]
	v_mul_f64 v[16:17], v[38:39], v[16:17]
	v_fma_f64 v[128:129], v[36:37], v[18:19], -v[16:17]
	v_accvgpr_read_b32 v36, a134
	v_accvgpr_read_b32 v38, a136
	;; [unrolled: 1-line block ×4, first 2 shown]
	v_mul_f64 v[134:135], v[38:39], v[22:23]
	v_fmac_f64_e32 v[134:135], v[36:37], v[20:21]
	v_mul_f64 v[16:17], v[38:39], v[20:21]
	v_accvgpr_read_b32 v18, a166
	v_accvgpr_read_b32 v20, a168
	;; [unrolled: 1-line block ×3, first 2 shown]
	v_fma_f64 v[132:133], v[36:37], v[22:23], -v[16:17]
	v_accvgpr_read_b32 v19, a167
	v_mul_f64 v[106:107], v[20:21], v[34:35]
	v_mul_f64 v[16:17], v[20:21], v[32:33]
	v_fmac_f64_e32 v[106:107], v[18:19], v[32:33]
	v_fma_f64 v[104:105], v[18:19], v[34:35], -v[16:17]
	ds_read_b128 v[16:19], v180 offset:15840
	ds_read_b128 v[20:23], v180 offset:16720
	v_accvgpr_read_b32 v32, a162
	v_accvgpr_read_b32 v34, a164
	;; [unrolled: 1-line block ×4, first 2 shown]
	s_waitcnt lgkmcnt(1)
	v_mul_f64 v[110:111], v[34:35], v[18:19]
	v_fmac_f64_e32 v[110:111], v[32:33], v[16:17]
	v_mul_f64 v[16:17], v[34:35], v[16:17]
	v_fma_f64 v[108:109], v[32:33], v[18:19], -v[16:17]
	v_accvgpr_read_b32 v32, a154
	v_accvgpr_read_b32 v34, a156
	;; [unrolled: 1-line block ×4, first 2 shown]
	v_mul_f64 v[114:115], v[34:35], v[30:31]
	v_mul_f64 v[16:17], v[34:35], v[28:29]
	v_fmac_f64_e32 v[114:115], v[32:33], v[28:29]
	v_fma_f64 v[112:113], v[32:33], v[30:31], -v[16:17]
	ds_read_b128 v[16:19], v180 offset:28160
	ds_read_b128 v[28:31], v180 offset:29040
	v_accvgpr_read_b32 v32, a142
	v_accvgpr_read_b32 v34, a144
	;; [unrolled: 1-line block ×4, first 2 shown]
	s_waitcnt lgkmcnt(1)
	v_mul_f64 v[118:119], v[34:35], v[18:19]
	v_fmac_f64_e32 v[118:119], v[32:33], v[16:17]
	v_mul_f64 v[16:17], v[34:35], v[16:17]
	v_fma_f64 v[116:117], v[32:33], v[18:19], -v[16:17]
	ds_read_b128 v[16:19], v180 offset:10560
	ds_read_b128 v[32:35], v180 offset:11440
	v_accvgpr_read_b32 v36, a186
	v_accvgpr_read_b32 v38, a188
	;; [unrolled: 1-line block ×4, first 2 shown]
	s_waitcnt lgkmcnt(1)
	v_mul_f64 v[78:79], v[38:39], v[18:19]
	v_fmac_f64_e32 v[78:79], v[36:37], v[16:17]
	v_mul_f64 v[16:17], v[38:39], v[16:17]
	v_fma_f64 v[76:77], v[36:37], v[18:19], -v[16:17]
	v_accvgpr_read_b32 v36, a170
	v_accvgpr_read_b32 v38, a172
	v_accvgpr_read_b32 v39, a173
	v_accvgpr_read_b32 v37, a171
	v_mul_f64 v[86:87], v[38:39], v[22:23]
	v_mul_f64 v[16:17], v[38:39], v[20:21]
	v_fmac_f64_e32 v[86:87], v[36:37], v[20:21]
	v_fma_f64 v[84:85], v[36:37], v[22:23], -v[16:17]
	ds_read_b128 v[16:19], v180 offset:22880
	ds_read_b128 v[20:23], v180 offset:23760
	v_accvgpr_read_b32 v36, a182
	v_accvgpr_read_b32 v38, a184
	;; [unrolled: 1-line block ×4, first 2 shown]
	s_waitcnt lgkmcnt(1)
	v_mul_f64 v[94:95], v[38:39], v[18:19]
	v_fmac_f64_e32 v[94:95], v[36:37], v[16:17]
	v_mul_f64 v[16:17], v[38:39], v[16:17]
	v_fma_f64 v[92:93], v[36:37], v[18:19], -v[16:17]
	v_accvgpr_read_b32 v36, a178
	v_accvgpr_read_b32 v38, a180
	v_accvgpr_read_b32 v39, a181
	v_accvgpr_read_b32 v37, a179
	v_mul_f64 v[98:99], v[38:39], v[30:31]
	v_mul_f64 v[16:17], v[38:39], v[28:29]
	v_fmac_f64_e32 v[98:99], v[36:37], v[28:29]
	v_fma_f64 v[96:97], v[36:37], v[30:31], -v[16:17]
	v_accvgpr_read_b32 v28, a190
	v_accvgpr_read_b32 v30, a192
	v_accvgpr_read_b32 v31, a193
	v_accvgpr_read_b32 v29, a191
	v_mul_f64 v[46:47], v[30:31], v[34:35]
	v_mul_f64 v[16:17], v[30:31], v[32:33]
	v_fmac_f64_e32 v[46:47], v[28:29], v[32:33]
	;; [unrolled: 8-line block ×3, first 2 shown]
	v_fma_f64 v[48:49], v[28:29], v[26:27], -v[16:17]
	v_accvgpr_read_b32 v24, a210
	v_accvgpr_read_b32 v26, a212
	;; [unrolled: 1-line block ×4, first 2 shown]
	s_waitcnt lgkmcnt(0)
	v_mul_f64 v[16:17], v[26:27], v[20:21]
	v_fma_f64 v[68:69], v[24:25], v[22:23], -v[16:17]
	ds_read_b128 v[16:19], v180 offset:29920
	v_mul_f64 v[70:71], v[26:27], v[22:23]
	v_fmac_f64_e32 v[70:71], v[24:25], v[20:21]
	v_accvgpr_read_b32 v20, a198
	ds_read_b128 v[36:39], v180
	ds_read_b128 v[32:35], v180 offset:880
	v_accvgpr_read_b32 v22, a200
	v_accvgpr_read_b32 v23, a201
	;; [unrolled: 1-line block ×3, first 2 shown]
	s_waitcnt lgkmcnt(2)
	v_mul_f64 v[74:75], v[22:23], v[18:19]
	v_fmac_f64_e32 v[74:75], v[20:21], v[16:17]
	v_mul_f64 v[16:17], v[22:23], v[16:17]
	v_fma_f64 v[72:73], v[20:21], v[18:19], -v[16:17]
	s_waitcnt lgkmcnt(1)
	v_add_f64 v[16:17], v[36:37], v[170:171]
	v_add_f64 v[18:19], v[38:39], v[168:169]
	;; [unrolled: 1-line block ×8, first 2 shown]
	ds_read_b128 v[28:31], v180 offset:1760
	ds_read_b128 v[24:27], v180 offset:2640
	;; [unrolled: 1-line block ×4, first 2 shown]
	s_waitcnt lgkmcnt(0)
	; wave barrier
	s_waitcnt lgkmcnt(0)
	ds_write_b128 v180, v[40:43]
	v_add_f64 v[40:41], v[170:171], -v[174:175]
	v_add_f64 v[42:43], v[56:57], -v[178:179]
	v_add_f64 v[58:59], v[40:41], v[42:43]
	v_add_f64 v[40:41], v[174:175], v[178:179]
	;; [unrolled: 1-line block ×3, first 2 shown]
	s_mov_b32 s8, 0x134454ff
	v_fma_f64 v[40:41], -0.5, v[40:41], v[36:37]
	v_fma_f64 v[42:43], -0.5, v[42:43], v[38:39]
	v_add_f64 v[52:53], v[168:169], -v[172:173]
	v_add_f64 v[54:55], v[182:183], -v[176:177]
	s_mov_b32 s9, 0xbfee6f0e
	s_mov_b32 s0, 0x4755a5e
	v_add_f64 v[62:63], v[168:169], -v[182:183]
	s_mov_b32 s15, 0x3fee6f0e
	s_mov_b32 s14, s8
	v_add_f64 v[66:67], v[170:171], -v[56:57]
	v_add_f64 v[60:61], v[52:53], v[54:55]
	s_mov_b32 s1, 0xbfe2cf23
	v_add_f64 v[64:65], v[172:173], -v[176:177]
	v_fma_f64 v[52:53], s[8:9], v[62:63], v[40:41]
	s_mov_b32 s2, 0x372fe950
	s_mov_b32 s11, 0x3fe2cf23
	;; [unrolled: 1-line block ×3, first 2 shown]
	v_fma_f64 v[54:55], s[14:15], v[66:67], v[42:43]
	v_add_f64 v[80:81], v[174:175], -v[178:179]
	v_fmac_f64_e32 v[52:53], s[0:1], v[64:65]
	s_mov_b32 s3, 0x3fd3c6ef
	v_fmac_f64_e32 v[54:55], s[10:11], v[80:81]
	v_fmac_f64_e32 v[52:53], s[2:3], v[58:59]
	;; [unrolled: 1-line block ×3, first 2 shown]
	ds_write_b128 v180, v[52:55] offset:1232
	v_add_f64 v[52:53], v[170:171], v[56:57]
	v_fmac_f64_e32 v[36:37], -0.5, v[52:53]
	v_add_f64 v[52:53], v[174:175], -v[170:171]
	v_add_f64 v[54:55], v[178:179], -v[56:57]
	v_add_f64 v[56:57], v[52:53], v[54:55]
	v_add_f64 v[52:53], v[168:169], v[182:183]
	v_fmac_f64_e32 v[38:39], -0.5, v[52:53]
	v_add_f64 v[52:53], v[172:173], -v[168:169]
	v_add_f64 v[54:55], v[176:177], -v[182:183]
	v_add_f64 v[82:83], v[52:53], v[54:55]
	v_fma_f64 v[52:53], s[14:15], v[64:65], v[36:37]
	v_fma_f64 v[54:55], s[8:9], v[80:81], v[38:39]
	v_fmac_f64_e32 v[36:37], s[8:9], v[64:65]
	v_fmac_f64_e32 v[38:39], s[14:15], v[80:81]
	;; [unrolled: 1-line block ×6, first 2 shown]
	ds_write_b128 v180, v[36:39] offset:3696
	v_add_f64 v[36:37], v[32:33], v[154:155]
	v_add_f64 v[38:39], v[34:35], v[152:153]
	v_fmac_f64_e32 v[40:41], s[14:15], v[62:63]
	v_fmac_f64_e32 v[42:43], s[8:9], v[66:67]
	v_add_f64 v[36:37], v[36:37], v[158:159]
	v_add_f64 v[38:39], v[38:39], v[156:157]
	v_fmac_f64_e32 v[52:53], s[0:1], v[62:63]
	v_fmac_f64_e32 v[54:55], s[10:11], v[66:67]
	;; [unrolled: 1-line block ×4, first 2 shown]
	v_add_f64 v[36:37], v[36:37], v[162:163]
	v_add_f64 v[38:39], v[38:39], v[160:161]
	v_fmac_f64_e32 v[52:53], s[2:3], v[56:57]
	v_fmac_f64_e32 v[54:55], s[2:3], v[82:83]
	;; [unrolled: 1-line block ×4, first 2 shown]
	v_add_f64 v[36:37], v[36:37], v[166:167]
	v_add_f64 v[38:39], v[38:39], v[164:165]
	v_accvgpr_read_b32 v80, a41
	ds_write_b128 v180, v[52:55] offset:2464
	ds_write_b128 v180, v[40:43] offset:4928
	ds_write_b128 v80, v[36:39]
	v_add_f64 v[36:37], v[154:155], -v[158:159]
	v_add_f64 v[38:39], v[166:167], -v[162:163]
	v_add_f64 v[52:53], v[36:37], v[38:39]
	v_add_f64 v[36:37], v[158:159], v[162:163]
	;; [unrolled: 1-line block ×3, first 2 shown]
	v_fma_f64 v[36:37], -0.5, v[36:37], v[32:33]
	v_fma_f64 v[38:39], -0.5, v[38:39], v[34:35]
	v_add_f64 v[40:41], v[152:153], -v[156:157]
	v_add_f64 v[42:43], v[164:165], -v[160:161]
	;; [unrolled: 1-line block ×4, first 2 shown]
	v_add_f64 v[54:55], v[40:41], v[42:43]
	v_add_f64 v[58:59], v[156:157], -v[160:161]
	v_fma_f64 v[40:41], s[8:9], v[56:57], v[36:37]
	v_fma_f64 v[42:43], s[14:15], v[60:61], v[38:39]
	v_add_f64 v[62:63], v[158:159], -v[162:163]
	v_fmac_f64_e32 v[40:41], s[0:1], v[58:59]
	v_fmac_f64_e32 v[42:43], s[10:11], v[62:63]
	;; [unrolled: 1-line block ×4, first 2 shown]
	ds_write_b128 v80, v[40:43] offset:1232
	v_add_f64 v[40:41], v[154:155], v[166:167]
	v_fmac_f64_e32 v[32:33], -0.5, v[40:41]
	v_add_f64 v[40:41], v[158:159], -v[154:155]
	v_add_f64 v[42:43], v[162:163], -v[166:167]
	v_add_f64 v[64:65], v[40:41], v[42:43]
	v_add_f64 v[40:41], v[152:153], v[164:165]
	v_fmac_f64_e32 v[34:35], -0.5, v[40:41]
	v_add_f64 v[40:41], v[156:157], -v[152:153]
	v_add_f64 v[42:43], v[160:161], -v[164:165]
	v_add_f64 v[66:67], v[40:41], v[42:43]
	v_fma_f64 v[40:41], s[14:15], v[58:59], v[32:33]
	v_fma_f64 v[42:43], s[8:9], v[62:63], v[34:35]
	v_fmac_f64_e32 v[32:33], s[8:9], v[58:59]
	v_fmac_f64_e32 v[34:35], s[14:15], v[62:63]
	;; [unrolled: 1-line block ×6, first 2 shown]
	ds_write_b128 v80, v[32:35] offset:3696
	v_add_f64 v[32:33], v[28:29], v[138:139]
	v_add_f64 v[34:35], v[30:31], v[136:137]
	v_fmac_f64_e32 v[36:37], s[14:15], v[56:57]
	v_fmac_f64_e32 v[38:39], s[8:9], v[60:61]
	v_add_f64 v[32:33], v[32:33], v[142:143]
	v_add_f64 v[34:35], v[34:35], v[140:141]
	v_fmac_f64_e32 v[40:41], s[0:1], v[56:57]
	v_fmac_f64_e32 v[42:43], s[10:11], v[60:61]
	;; [unrolled: 1-line block ×4, first 2 shown]
	v_add_f64 v[32:33], v[32:33], v[146:147]
	v_add_f64 v[34:35], v[34:35], v[144:145]
	v_fmac_f64_e32 v[40:41], s[2:3], v[64:65]
	v_fmac_f64_e32 v[42:43], s[2:3], v[66:67]
	;; [unrolled: 1-line block ×4, first 2 shown]
	v_add_f64 v[32:33], v[32:33], v[150:151]
	v_add_f64 v[34:35], v[34:35], v[148:149]
	v_accvgpr_read_b32 v64, a231
	ds_write_b128 v80, v[40:43] offset:2464
	ds_write_b128 v80, v[36:39] offset:4928
	ds_write_b128 v64, v[32:35]
	v_add_f64 v[32:33], v[138:139], -v[142:143]
	v_add_f64 v[34:35], v[150:151], -v[146:147]
	v_add_f64 v[40:41], v[32:33], v[34:35]
	v_add_f64 v[32:33], v[142:143], v[146:147]
	v_add_f64 v[34:35], v[140:141], v[144:145]
	v_fma_f64 v[32:33], -0.5, v[32:33], v[28:29]
	v_fma_f64 v[34:35], -0.5, v[34:35], v[30:31]
	v_add_f64 v[36:37], v[136:137], -v[140:141]
	v_add_f64 v[38:39], v[148:149], -v[144:145]
	;; [unrolled: 1-line block ×4, first 2 shown]
	v_add_f64 v[42:43], v[36:37], v[38:39]
	v_add_f64 v[54:55], v[140:141], -v[144:145]
	v_fma_f64 v[36:37], s[8:9], v[52:53], v[32:33]
	v_fma_f64 v[38:39], s[14:15], v[56:57], v[34:35]
	v_add_f64 v[58:59], v[142:143], -v[146:147]
	v_fmac_f64_e32 v[36:37], s[0:1], v[54:55]
	v_fmac_f64_e32 v[38:39], s[10:11], v[58:59]
	;; [unrolled: 1-line block ×4, first 2 shown]
	ds_write_b128 v64, v[36:39] offset:1232
	v_add_f64 v[36:37], v[138:139], v[150:151]
	v_fmac_f64_e32 v[28:29], -0.5, v[36:37]
	v_add_f64 v[36:37], v[142:143], -v[138:139]
	v_add_f64 v[38:39], v[146:147], -v[150:151]
	v_add_f64 v[60:61], v[36:37], v[38:39]
	v_add_f64 v[36:37], v[136:137], v[148:149]
	v_fmac_f64_e32 v[30:31], -0.5, v[36:37]
	v_add_f64 v[36:37], v[140:141], -v[136:137]
	v_add_f64 v[38:39], v[144:145], -v[148:149]
	v_add_f64 v[62:63], v[36:37], v[38:39]
	v_fma_f64 v[36:37], s[14:15], v[54:55], v[28:29]
	v_fma_f64 v[38:39], s[8:9], v[58:59], v[30:31]
	v_fmac_f64_e32 v[28:29], s[8:9], v[54:55]
	v_fmac_f64_e32 v[30:31], s[14:15], v[58:59]
	;; [unrolled: 1-line block ×6, first 2 shown]
	ds_write_b128 v64, v[28:31] offset:3696
	v_add_f64 v[28:29], v[24:25], v[122:123]
	v_add_f64 v[30:31], v[26:27], v[120:121]
	v_fmac_f64_e32 v[32:33], s[14:15], v[52:53]
	v_fmac_f64_e32 v[34:35], s[8:9], v[56:57]
	v_add_f64 v[28:29], v[28:29], v[126:127]
	v_add_f64 v[30:31], v[30:31], v[124:125]
	v_fmac_f64_e32 v[36:37], s[0:1], v[52:53]
	v_fmac_f64_e32 v[38:39], s[10:11], v[56:57]
	;; [unrolled: 1-line block ×4, first 2 shown]
	v_add_f64 v[28:29], v[28:29], v[130:131]
	v_add_f64 v[30:31], v[30:31], v[128:129]
	v_fmac_f64_e32 v[36:37], s[2:3], v[60:61]
	v_fmac_f64_e32 v[38:39], s[2:3], v[62:63]
	;; [unrolled: 1-line block ×4, first 2 shown]
	v_add_f64 v[28:29], v[28:29], v[134:135]
	v_add_f64 v[30:31], v[30:31], v[132:133]
	v_accvgpr_read_b32 v60, a249
	ds_write_b128 v64, v[36:39] offset:2464
	ds_write_b128 v64, v[32:35] offset:4928
	;; [unrolled: 1-line block ×3, first 2 shown]
	v_add_f64 v[28:29], v[122:123], -v[126:127]
	v_add_f64 v[30:31], v[134:135], -v[130:131]
	v_add_f64 v[36:37], v[28:29], v[30:31]
	v_add_f64 v[28:29], v[126:127], v[130:131]
	;; [unrolled: 1-line block ×3, first 2 shown]
	v_fma_f64 v[28:29], -0.5, v[28:29], v[24:25]
	v_fma_f64 v[30:31], -0.5, v[30:31], v[26:27]
	v_add_f64 v[32:33], v[120:121], -v[124:125]
	v_add_f64 v[34:35], v[132:133], -v[128:129]
	v_add_f64 v[40:41], v[120:121], -v[132:133]
	v_add_f64 v[52:53], v[122:123], -v[134:135]
	v_add_f64 v[38:39], v[32:33], v[34:35]
	v_add_f64 v[42:43], v[124:125], -v[128:129]
	v_fma_f64 v[32:33], s[8:9], v[40:41], v[28:29]
	v_fma_f64 v[34:35], s[14:15], v[52:53], v[30:31]
	v_add_f64 v[54:55], v[126:127], -v[130:131]
	v_fmac_f64_e32 v[32:33], s[0:1], v[42:43]
	v_fmac_f64_e32 v[34:35], s[10:11], v[54:55]
	;; [unrolled: 1-line block ×4, first 2 shown]
	ds_write_b128 v60, v[32:35] offset:13552
	v_add_f64 v[32:33], v[122:123], v[134:135]
	v_fmac_f64_e32 v[24:25], -0.5, v[32:33]
	v_add_f64 v[32:33], v[126:127], -v[122:123]
	v_add_f64 v[34:35], v[130:131], -v[134:135]
	v_add_f64 v[56:57], v[32:33], v[34:35]
	v_add_f64 v[32:33], v[120:121], v[132:133]
	v_fmac_f64_e32 v[26:27], -0.5, v[32:33]
	v_add_f64 v[32:33], v[124:125], -v[120:121]
	v_add_f64 v[34:35], v[128:129], -v[132:133]
	v_add_f64 v[58:59], v[32:33], v[34:35]
	v_fma_f64 v[32:33], s[14:15], v[42:43], v[24:25]
	v_fma_f64 v[34:35], s[8:9], v[54:55], v[26:27]
	v_fmac_f64_e32 v[24:25], s[8:9], v[42:43]
	v_fmac_f64_e32 v[26:27], s[14:15], v[54:55]
	;; [unrolled: 1-line block ×6, first 2 shown]
	ds_write_b128 v60, v[24:27] offset:16016
	v_add_f64 v[24:25], v[20:21], v[106:107]
	v_add_f64 v[26:27], v[22:23], v[104:105]
	v_fmac_f64_e32 v[28:29], s[14:15], v[40:41]
	v_fmac_f64_e32 v[30:31], s[8:9], v[52:53]
	v_add_f64 v[24:25], v[24:25], v[110:111]
	v_add_f64 v[26:27], v[26:27], v[108:109]
	v_fmac_f64_e32 v[32:33], s[0:1], v[40:41]
	v_fmac_f64_e32 v[34:35], s[10:11], v[52:53]
	;; [unrolled: 1-line block ×4, first 2 shown]
	v_add_f64 v[24:25], v[24:25], v[114:115]
	v_add_f64 v[26:27], v[26:27], v[112:113]
	v_fmac_f64_e32 v[32:33], s[2:3], v[56:57]
	v_fmac_f64_e32 v[34:35], s[2:3], v[58:59]
	;; [unrolled: 1-line block ×4, first 2 shown]
	v_add_f64 v[24:25], v[24:25], v[118:119]
	v_add_f64 v[26:27], v[26:27], v[116:117]
	v_accvgpr_read_b32 v56, a255
	ds_write_b128 v60, v[32:35] offset:14784
	ds_write_b128 v60, v[28:31] offset:17248
	ds_write_b128 v56, v[24:27]
	v_add_f64 v[24:25], v[106:107], -v[110:111]
	v_add_f64 v[26:27], v[118:119], -v[114:115]
	v_add_f64 v[32:33], v[24:25], v[26:27]
	v_add_f64 v[24:25], v[110:111], v[114:115]
	;; [unrolled: 1-line block ×3, first 2 shown]
	v_fma_f64 v[24:25], -0.5, v[24:25], v[20:21]
	v_fma_f64 v[26:27], -0.5, v[26:27], v[22:23]
	v_add_f64 v[28:29], v[104:105], -v[108:109]
	v_add_f64 v[30:31], v[116:117], -v[112:113]
	v_add_f64 v[36:37], v[104:105], -v[116:117]
	v_add_f64 v[40:41], v[106:107], -v[118:119]
	v_add_f64 v[34:35], v[28:29], v[30:31]
	v_add_f64 v[38:39], v[108:109], -v[112:113]
	v_fma_f64 v[28:29], s[8:9], v[36:37], v[24:25]
	v_fma_f64 v[30:31], s[14:15], v[40:41], v[26:27]
	v_add_f64 v[42:43], v[110:111], -v[114:115]
	v_fmac_f64_e32 v[28:29], s[0:1], v[38:39]
	v_fmac_f64_e32 v[30:31], s[10:11], v[42:43]
	;; [unrolled: 1-line block ×4, first 2 shown]
	ds_write_b128 v56, v[28:31] offset:1232
	v_add_f64 v[28:29], v[106:107], v[118:119]
	v_fmac_f64_e32 v[20:21], -0.5, v[28:29]
	v_add_f64 v[28:29], v[110:111], -v[106:107]
	v_add_f64 v[30:31], v[114:115], -v[118:119]
	v_add_f64 v[52:53], v[28:29], v[30:31]
	v_add_f64 v[28:29], v[104:105], v[116:117]
	v_fmac_f64_e32 v[22:23], -0.5, v[28:29]
	v_add_f64 v[28:29], v[108:109], -v[104:105]
	v_add_f64 v[30:31], v[112:113], -v[116:117]
	v_add_f64 v[54:55], v[28:29], v[30:31]
	v_fma_f64 v[28:29], s[14:15], v[38:39], v[20:21]
	v_fma_f64 v[30:31], s[8:9], v[42:43], v[22:23]
	v_fmac_f64_e32 v[20:21], s[8:9], v[38:39]
	v_fmac_f64_e32 v[22:23], s[14:15], v[42:43]
	;; [unrolled: 1-line block ×6, first 2 shown]
	ds_write_b128 v56, v[20:23] offset:3696
	v_add_f64 v[20:21], v[16:17], v[78:79]
	v_add_f64 v[22:23], v[18:19], v[76:77]
	v_fmac_f64_e32 v[24:25], s[14:15], v[36:37]
	v_fmac_f64_e32 v[26:27], s[8:9], v[40:41]
	v_add_f64 v[20:21], v[20:21], v[86:87]
	v_add_f64 v[22:23], v[22:23], v[84:85]
	v_fmac_f64_e32 v[28:29], s[0:1], v[36:37]
	v_fmac_f64_e32 v[30:31], s[10:11], v[40:41]
	;; [unrolled: 1-line block ×4, first 2 shown]
	v_add_f64 v[20:21], v[20:21], v[94:95]
	v_add_f64 v[22:23], v[22:23], v[92:93]
	v_fmac_f64_e32 v[28:29], s[2:3], v[52:53]
	v_fmac_f64_e32 v[30:31], s[2:3], v[54:55]
	v_fmac_f64_e32 v[24:25], s[2:3], v[32:33]
	v_fmac_f64_e32 v[26:27], s[2:3], v[34:35]
	v_add_f64 v[20:21], v[20:21], v[98:99]
	v_add_f64 v[22:23], v[22:23], v[96:97]
	v_accvgpr_read_b32 v52, a254
	ds_write_b128 v56, v[28:31] offset:2464
	ds_write_b128 v56, v[24:27] offset:4928
	ds_write_b128 v52, v[20:23]
	v_add_f64 v[20:21], v[78:79], -v[86:87]
	v_add_f64 v[22:23], v[98:99], -v[94:95]
	v_add_f64 v[28:29], v[20:21], v[22:23]
	v_add_f64 v[20:21], v[86:87], v[94:95]
	;; [unrolled: 1-line block ×3, first 2 shown]
	v_fma_f64 v[20:21], -0.5, v[20:21], v[16:17]
	v_fma_f64 v[22:23], -0.5, v[22:23], v[18:19]
	v_add_f64 v[24:25], v[76:77], -v[84:85]
	v_add_f64 v[26:27], v[96:97], -v[92:93]
	;; [unrolled: 1-line block ×4, first 2 shown]
	v_add_f64 v[30:31], v[24:25], v[26:27]
	v_add_f64 v[34:35], v[84:85], -v[92:93]
	v_fma_f64 v[24:25], s[8:9], v[32:33], v[20:21]
	v_fma_f64 v[26:27], s[14:15], v[36:37], v[22:23]
	v_add_f64 v[38:39], v[86:87], -v[94:95]
	v_fmac_f64_e32 v[24:25], s[0:1], v[34:35]
	v_fmac_f64_e32 v[26:27], s[10:11], v[38:39]
	;; [unrolled: 1-line block ×4, first 2 shown]
	ds_write_b128 v52, v[24:27] offset:1232
	v_add_f64 v[24:25], v[78:79], v[98:99]
	v_fmac_f64_e32 v[16:17], -0.5, v[24:25]
	v_add_f64 v[24:25], v[86:87], -v[78:79]
	v_add_f64 v[26:27], v[94:95], -v[98:99]
	v_add_f64 v[40:41], v[24:25], v[26:27]
	v_add_f64 v[24:25], v[76:77], v[96:97]
	v_fmac_f64_e32 v[18:19], -0.5, v[24:25]
	v_add_f64 v[24:25], v[84:85], -v[76:77]
	v_add_f64 v[26:27], v[92:93], -v[96:97]
	v_add_f64 v[42:43], v[24:25], v[26:27]
	v_fma_f64 v[24:25], s[14:15], v[34:35], v[16:17]
	v_fma_f64 v[26:27], s[8:9], v[38:39], v[18:19]
	v_fmac_f64_e32 v[16:17], s[8:9], v[34:35]
	v_fmac_f64_e32 v[18:19], s[14:15], v[38:39]
	;; [unrolled: 1-line block ×6, first 2 shown]
	ds_write_b128 v52, v[16:19] offset:3696
	v_add_f64 v[16:17], v[12:13], v[46:47]
	v_add_f64 v[18:19], v[14:15], v[44:45]
	v_fmac_f64_e32 v[20:21], s[14:15], v[32:33]
	v_fmac_f64_e32 v[22:23], s[8:9], v[36:37]
	v_add_f64 v[16:17], v[16:17], v[50:51]
	v_add_f64 v[18:19], v[18:19], v[48:49]
	v_fmac_f64_e32 v[24:25], s[0:1], v[32:33]
	v_fmac_f64_e32 v[26:27], s[10:11], v[36:37]
	;; [unrolled: 1-line block ×4, first 2 shown]
	v_add_f64 v[16:17], v[16:17], v[70:71]
	v_add_f64 v[18:19], v[18:19], v[68:69]
	v_fmac_f64_e32 v[24:25], s[2:3], v[40:41]
	v_fmac_f64_e32 v[26:27], s[2:3], v[42:43]
	v_fmac_f64_e32 v[20:21], s[2:3], v[28:29]
	v_fmac_f64_e32 v[22:23], s[2:3], v[30:31]
	v_add_f64 v[16:17], v[16:17], v[74:75]
	v_add_f64 v[18:19], v[18:19], v[72:73]
	ds_write_b128 v52, v[24:27] offset:2464
	ds_write_b128 v52, v[20:23] offset:4928
	;; [unrolled: 1-line block ×3, first 2 shown]
	v_add_f64 v[16:17], v[46:47], -v[50:51]
	v_add_f64 v[18:19], v[74:75], -v[70:71]
	v_add_f64 v[24:25], v[16:17], v[18:19]
	v_add_f64 v[16:17], v[50:51], v[70:71]
	;; [unrolled: 1-line block ×3, first 2 shown]
	v_fma_f64 v[16:17], -0.5, v[16:17], v[12:13]
	v_fma_f64 v[18:19], -0.5, v[18:19], v[14:15]
	v_add_f64 v[20:21], v[44:45], -v[48:49]
	v_add_f64 v[22:23], v[72:73], -v[68:69]
	;; [unrolled: 1-line block ×4, first 2 shown]
	v_add_f64 v[26:27], v[20:21], v[22:23]
	v_add_f64 v[30:31], v[48:49], -v[68:69]
	v_fma_f64 v[20:21], s[8:9], v[28:29], v[16:17]
	v_fma_f64 v[22:23], s[14:15], v[32:33], v[18:19]
	v_add_f64 v[34:35], v[50:51], -v[70:71]
	v_fmac_f64_e32 v[20:21], s[0:1], v[30:31]
	v_fmac_f64_e32 v[22:23], s[10:11], v[34:35]
	;; [unrolled: 1-line block ×4, first 2 shown]
	ds_write_b128 v211, v[20:23] offset:25872
	v_add_f64 v[20:21], v[46:47], v[74:75]
	v_fmac_f64_e32 v[12:13], -0.5, v[20:21]
	v_add_f64 v[20:21], v[50:51], -v[46:47]
	v_add_f64 v[22:23], v[70:71], -v[74:75]
	v_add_f64 v[36:37], v[20:21], v[22:23]
	v_add_f64 v[20:21], v[44:45], v[72:73]
	v_fmac_f64_e32 v[14:15], -0.5, v[20:21]
	v_add_f64 v[20:21], v[48:49], -v[44:45]
	v_add_f64 v[22:23], v[68:69], -v[72:73]
	v_add_f64 v[38:39], v[20:21], v[22:23]
	v_fma_f64 v[20:21], s[14:15], v[30:31], v[12:13]
	v_fma_f64 v[22:23], s[8:9], v[34:35], v[14:15]
	v_fmac_f64_e32 v[12:13], s[8:9], v[30:31]
	v_fmac_f64_e32 v[14:15], s[14:15], v[34:35]
	;; [unrolled: 1-line block ×16, first 2 shown]
	ds_write_b128 v211, v[20:23] offset:27104
	ds_write_b128 v211, v[12:15] offset:28336
	ds_write_b128 v211, v[16:19] offset:29568
	s_waitcnt lgkmcnt(0)
	; wave barrier
	s_waitcnt lgkmcnt(0)
	ds_read_b128 v[16:19], v180 offset:6160
	ds_read_b128 v[12:15], v180 offset:5280
	v_accvgpr_read_b32 v20, a202
	v_accvgpr_read_b32 v22, a204
	v_accvgpr_read_b32 v23, a205
	v_accvgpr_read_b32 v21, a203
	s_waitcnt lgkmcnt(1)
	v_mul_f64 v[46:47], v[22:23], v[18:19]
	v_fmac_f64_e32 v[46:47], v[20:21], v[16:17]
	v_mul_f64 v[16:17], v[22:23], v[16:17]
	v_fma_f64 v[44:45], v[20:21], v[18:19], -v[16:17]
	ds_read_b128 v[16:19], v180 offset:12320
	ds_read_b128 v[22:25], v180 offset:13200
	v_accvgpr_read_b32 v26, a206
	v_accvgpr_read_b32 v28, a208
	v_accvgpr_read_b32 v29, a209
	v_accvgpr_read_b32 v27, a207
	s_waitcnt lgkmcnt(1)
	v_mul_f64 v[120:121], v[28:29], v[18:19]
	v_fmac_f64_e32 v[120:121], v[26:27], v[16:17]
	v_mul_f64 v[16:17], v[28:29], v[16:17]
	v_fma_f64 v[118:119], v[26:27], v[18:19], -v[16:17]
	;; [unrolled: 11-line block ×5, first 2 shown]
	v_accvgpr_read_b32 v34, a232
	v_accvgpr_read_b32 v36, a234
	;; [unrolled: 1-line block ×4, first 2 shown]
	v_mul_f64 v[48:49], v[36:37], v[24:25]
	v_mul_f64 v[18:19], v[36:37], v[22:23]
	v_fmac_f64_e32 v[48:49], v[34:35], v[22:23]
	v_fma_f64 v[18:19], v[34:35], v[24:25], -v[18:19]
	ds_read_b128 v[22:25], v180 offset:19360
	ds_read_b128 v[34:37], v180 offset:20240
	v_accvgpr_read_b32 v38, a236
	v_accvgpr_read_b32 v40, a238
	;; [unrolled: 1-line block ×4, first 2 shown]
	s_waitcnt lgkmcnt(1)
	v_mul_f64 v[116:117], v[40:41], v[24:25]
	v_accvgpr_read_b32 v50, a240
	v_fmac_f64_e32 v[116:117], v[38:39], v[22:23]
	v_mul_f64 v[22:23], v[40:41], v[22:23]
	v_accvgpr_read_b32 v52, a242
	v_accvgpr_read_b32 v53, a243
	;; [unrolled: 1-line block ×3, first 2 shown]
	v_fma_f64 v[40:41], v[38:39], v[24:25], -v[22:23]
	v_accvgpr_read_b32 v51, a241
	v_mul_f64 v[54:55], v[52:53], v[28:29]
	v_mul_f64 v[22:23], v[52:53], v[26:27]
	v_accvgpr_read_b32 v58, a6
	v_fmac_f64_e32 v[54:55], v[50:51], v[26:27]
	v_fma_f64 v[50:51], v[50:51], v[28:29], -v[22:23]
	v_accvgpr_read_b32 v57, a5
	v_accvgpr_read_b32 v56, a4
	v_mul_f64 v[26:27], v[58:59], v[32:33]
	v_mul_f64 v[22:23], v[58:59], v[30:31]
	v_fmac_f64_e32 v[26:27], v[56:57], v[30:31]
	v_fma_f64 v[22:23], v[56:57], v[32:33], -v[22:23]
	ds_read_b128 v[28:31], v180 offset:14080
	ds_read_b128 v[56:59], v180 offset:14960
	v_accvgpr_read_b32 v60, a250
	v_accvgpr_read_b32 v62, a252
	v_accvgpr_read_b32 v63, a253
	v_accvgpr_read_b32 v61, a251
	s_waitcnt lgkmcnt(1)
	v_mul_f64 v[32:33], v[62:63], v[30:31]
	v_mul_f64 v[24:25], v[62:63], v[28:29]
	v_fmac_f64_e32 v[32:33], v[60:61], v[28:29]
	v_fma_f64 v[24:25], v[60:61], v[30:31], -v[24:25]
	v_accvgpr_read_b32 v63, a3
	v_accvgpr_read_b32 v62, a2
	;; [unrolled: 1-line block ×4, first 2 shown]
	v_mul_f64 v[38:39], v[62:63], v[36:37]
	v_mul_f64 v[28:29], v[62:63], v[34:35]
	v_fmac_f64_e32 v[38:39], v[60:61], v[34:35]
	v_fma_f64 v[28:29], v[60:61], v[36:37], -v[28:29]
	ds_read_b128 v[34:37], v180 offset:26400
	ds_read_b128 v[62:65], v180 offset:27280
	v_accvgpr_read_b32 v66, a226
	v_accvgpr_read_b32 v68, a228
	;; [unrolled: 1-line block ×4, first 2 shown]
	s_waitcnt lgkmcnt(1)
	v_mul_f64 v[42:43], v[68:69], v[36:37]
	v_mul_f64 v[30:31], v[68:69], v[34:35]
	v_fmac_f64_e32 v[42:43], v[66:67], v[34:35]
	v_fma_f64 v[36:37], v[66:67], v[36:37], -v[30:31]
	ds_read_b128 v[66:69], v180 offset:8800
	ds_read_b128 v[76:79], v180 offset:9680
	v_accvgpr_read_b32 v70, a244
	v_accvgpr_read_b32 v72, a246
	;; [unrolled: 1-line block ×4, first 2 shown]
	s_waitcnt lgkmcnt(1)
	v_mul_f64 v[30:31], v[72:73], v[68:69]
	v_mul_f64 v[34:35], v[72:73], v[66:67]
	v_fmac_f64_e32 v[30:31], v[70:71], v[66:67]
	v_fma_f64 v[34:35], v[70:71], v[68:69], -v[34:35]
	ds_read_b128 v[66:69], v180 offset:21120
	ds_read_b128 v[80:83], v180 offset:22000
	v_accvgpr_read_b32 v87, a15
	v_mul_f64 v[60:61], v[214:215], v[58:59]
	v_mul_f64 v[52:53], v[214:215], v[56:57]
	v_accvgpr_read_b32 v86, a14
	v_fmac_f64_e32 v[60:61], v[212:213], v[56:57]
	v_fma_f64 v[56:57], v[212:213], v[58:59], -v[52:53]
	v_accvgpr_read_b32 v85, a13
	v_accvgpr_read_b32 v84, a12
	s_waitcnt lgkmcnt(1)
	v_mul_f64 v[52:53], v[86:87], v[66:67]
	v_mul_f64 v[72:73], v[86:87], v[68:69]
	v_fma_f64 v[58:59], v[84:85], v[68:69], -v[52:53]
	ds_read_b128 v[68:71], v180 offset:15840
	ds_read_b128 v[88:91], v180 offset:16720
	v_mul_f64 v[74:75], v[218:219], v[64:65]
	v_mul_f64 v[52:53], v[218:219], v[62:63]
	v_fmac_f64_e32 v[74:75], v[216:217], v[62:63]
	v_fma_f64 v[64:65], v[216:217], v[64:65], -v[52:53]
	v_mul_f64 v[62:63], v[222:223], v[78:79]
	v_mul_f64 v[52:53], v[222:223], v[76:77]
	v_fmac_f64_e32 v[72:73], v[84:85], v[66:67]
	v_fmac_f64_e32 v[62:63], v[220:221], v[76:77]
	v_fma_f64 v[66:67], v[220:221], v[78:79], -v[52:53]
	s_waitcnt lgkmcnt(1)
	v_mul_f64 v[76:77], v[226:227], v[70:71]
	v_mul_f64 v[52:53], v[226:227], v[68:69]
	;; [unrolled: 1-line block ×3, first 2 shown]
	v_fmac_f64_e32 v[76:77], v[224:225], v[68:69]
	v_fma_f64 v[68:69], v[224:225], v[70:71], -v[52:53]
	v_fmac_f64_e32 v[84:85], v[232:233], v[80:81]
	v_mul_f64 v[52:53], v[234:235], v[80:81]
	ds_read_b128 v[78:81], v180 offset:28160
	ds_read_b128 v[104:107], v180 offset:29040
	;; [unrolled: 1-line block ×4, first 2 shown]
	v_fma_f64 v[70:71], v[232:233], v[82:83], -v[52:53]
	s_waitcnt lgkmcnt(4)
	v_mul_f64 v[96:97], v[246:247], v[90:91]
	s_waitcnt lgkmcnt(3)
	v_mul_f64 v[52:53], v[230:231], v[78:79]
	v_mul_f64 v[86:87], v[230:231], v[80:81]
	v_fma_f64 v[80:81], v[228:229], v[80:81], -v[52:53]
	s_waitcnt lgkmcnt(1)
	v_mul_f64 v[52:53], v[238:239], v[92:93]
	v_fmac_f64_e32 v[86:87], v[228:229], v[78:79]
	v_mul_f64 v[78:79], v[238:239], v[94:95]
	v_fma_f64 v[82:83], v[236:237], v[94:95], -v[52:53]
	v_mul_f64 v[52:53], v[246:247], v[88:89]
	v_fmac_f64_e32 v[78:79], v[236:237], v[92:93]
	v_fmac_f64_e32 v[96:97], v[244:245], v[88:89]
	v_fma_f64 v[88:89], v[244:245], v[90:91], -v[52:53]
	ds_read_b128 v[90:93], v180 offset:22880
	ds_read_b128 v[130:133], v180 offset:23760
	v_mul_f64 v[114:115], v[250:251], v[106:107]
	v_fmac_f64_e32 v[114:115], v[248:249], v[104:105]
	v_add_f64 v[136:137], v[44:45], -v[126:127]
	s_waitcnt lgkmcnt(1)
	v_mul_f64 v[52:53], v[242:243], v[90:91]
	v_mul_f64 v[112:113], v[242:243], v[92:93]
	v_fma_f64 v[92:93], v[240:241], v[92:93], -v[52:53]
	v_mul_f64 v[52:53], v[250:251], v[104:105]
	v_mul_f64 v[104:105], v[2:3], v[102:103]
	;; [unrolled: 1-line block ×3, first 2 shown]
	v_fmac_f64_e32 v[104:105], v[0:1], v[100:101]
	v_fma_f64 v[100:101], v[0:1], v[102:103], -v[2:3]
	s_waitcnt lgkmcnt(0)
	v_mul_f64 v[0:1], v[6:7], v[130:131]
	v_fma_f64 v[102:103], v[4:5], v[132:133], -v[0:1]
	ds_read_b128 v[0:3], v180 offset:29920
	v_fma_f64 v[98:99], v[248:249], v[106:107], -v[52:53]
	v_mul_f64 v[52:53], v[254:255], v[108:109]
	v_fmac_f64_e32 v[112:113], v[240:241], v[90:91]
	v_mul_f64 v[90:91], v[254:255], v[110:111]
	v_fma_f64 v[94:95], v[252:253], v[110:111], -v[52:53]
	s_waitcnt lgkmcnt(0)
	v_mul_f64 v[110:111], v[10:11], v[2:3]
	v_fmac_f64_e32 v[90:91], v[252:253], v[108:109]
	v_mul_f64 v[108:109], v[6:7], v[132:133]
	v_fmac_f64_e32 v[110:111], v[8:9], v[0:1]
	;; [unrolled: 2-line block ×3, first 2 shown]
	v_fma_f64 v[106:107], v[8:9], v[2:3], -v[0:1]
	ds_read_b128 v[4:7], v180
	ds_read_b128 v[0:3], v180 offset:880
	v_add_f64 v[130:131], v[44:45], -v[118:119]
	v_add_f64 v[132:133], v[126:127], -v[122:123]
	;; [unrolled: 1-line block ×3, first 2 shown]
	s_waitcnt lgkmcnt(1)
	v_add_f64 v[8:9], v[4:5], v[46:47]
	v_add_f64 v[10:11], v[6:7], v[44:45]
	;; [unrolled: 1-line block ×8, first 2 shown]
	ds_write_b128 v180, v[8:11]
	v_add_f64 v[8:9], v[46:47], -v[120:121]
	v_add_f64 v[10:11], v[128:129], -v[124:125]
	v_add_f64 v[52:53], v[8:9], v[10:11]
	v_add_f64 v[8:9], v[120:121], v[124:125]
	;; [unrolled: 1-line block ×3, first 2 shown]
	v_fma_f64 v[8:9], -0.5, v[8:9], v[4:5]
	v_fma_f64 v[10:11], -0.5, v[10:11], v[6:7]
	v_add_f64 v[134:135], v[130:131], v[132:133]
	v_add_f64 v[138:139], v[118:119], -v[122:123]
	v_fma_f64 v[130:131], s[8:9], v[136:137], v[8:9]
	v_fma_f64 v[132:133], s[14:15], v[140:141], v[10:11]
	v_add_f64 v[142:143], v[120:121], -v[124:125]
	v_fmac_f64_e32 v[130:131], s[0:1], v[138:139]
	v_fmac_f64_e32 v[132:133], s[10:11], v[142:143]
	;; [unrolled: 1-line block ×4, first 2 shown]
	ds_write_b128 v180, v[130:133] offset:6160
	v_add_f64 v[130:131], v[46:47], v[128:129]
	v_add_f64 v[46:47], v[120:121], -v[46:47]
	v_add_f64 v[120:121], v[124:125], -v[128:129]
	v_add_f64 v[120:121], v[46:47], v[120:121]
	v_add_f64 v[46:47], v[44:45], v[126:127]
	v_fmac_f64_e32 v[4:5], -0.5, v[130:131]
	v_fmac_f64_e32 v[6:7], -0.5, v[46:47]
	v_add_f64 v[44:45], v[118:119], -v[44:45]
	v_add_f64 v[46:47], v[122:123], -v[126:127]
	v_add_f64 v[118:119], v[44:45], v[46:47]
	v_fma_f64 v[44:45], s[14:15], v[138:139], v[4:5]
	v_fma_f64 v[46:47], s[8:9], v[142:143], v[6:7]
	v_fmac_f64_e32 v[4:5], s[8:9], v[138:139]
	v_fmac_f64_e32 v[6:7], s[14:15], v[142:143]
	;; [unrolled: 1-line block ×8, first 2 shown]
	ds_write_b128 v180, v[4:7] offset:18480
	v_fmac_f64_e32 v[8:9], s[14:15], v[136:137]
	v_fmac_f64_e32 v[10:11], s[8:9], v[140:141]
	v_add_f64 v[4:5], v[20:21], -v[48:49]
	v_add_f64 v[6:7], v[54:55], -v[116:117]
	v_fmac_f64_e32 v[44:45], s[2:3], v[120:121]
	v_fmac_f64_e32 v[46:47], s[2:3], v[118:119]
	;; [unrolled: 1-line block ×4, first 2 shown]
	v_add_f64 v[4:5], v[4:5], v[6:7]
	v_add_f64 v[6:7], v[48:49], v[116:117]
	ds_write_b128 v180, v[44:47] offset:12320
	v_fmac_f64_e32 v[8:9], s[2:3], v[52:53]
	v_fmac_f64_e32 v[10:11], s[2:3], v[134:135]
	s_waitcnt lgkmcnt(4)
	v_fma_f64 v[44:45], -0.5, v[6:7], v[0:1]
	v_add_f64 v[6:7], v[16:17], -v[50:51]
	ds_write_b128 v180, v[8:11] offset:24640
	v_add_f64 v[10:11], v[18:19], -v[40:41]
	v_fma_f64 v[8:9], s[8:9], v[6:7], v[44:45]
	v_fmac_f64_e32 v[44:45], s[14:15], v[6:7]
	v_fmac_f64_e32 v[8:9], s[0:1], v[10:11]
	;; [unrolled: 1-line block ×3, first 2 shown]
	v_add_f64 v[46:47], v[20:21], v[54:55]
	v_fmac_f64_e32 v[8:9], s[2:3], v[4:5]
	v_fmac_f64_e32 v[44:45], s[2:3], v[4:5]
	v_add_f64 v[4:5], v[0:1], v[20:21]
	v_fmac_f64_e32 v[0:1], -0.5, v[46:47]
	v_add_f64 v[46:47], v[48:49], -v[20:21]
	v_add_f64 v[52:53], v[116:117], -v[54:55]
	v_add_f64 v[46:47], v[46:47], v[52:53]
	v_fma_f64 v[52:53], s[14:15], v[10:11], v[0:1]
	v_fmac_f64_e32 v[0:1], s[8:9], v[10:11]
	v_add_f64 v[4:5], v[4:5], v[48:49]
	v_fmac_f64_e32 v[52:53], s[0:1], v[6:7]
	v_fmac_f64_e32 v[0:1], s[10:11], v[6:7]
	v_add_f64 v[4:5], v[4:5], v[116:117]
	v_add_f64 v[10:11], v[18:19], v[40:41]
	v_fmac_f64_e32 v[52:53], s[2:3], v[46:47]
	v_fmac_f64_e32 v[0:1], s[2:3], v[46:47]
	v_add_f64 v[6:7], v[2:3], v[16:17]
	v_add_f64 v[4:5], v[4:5], v[54:55]
	v_fma_f64 v[46:47], -0.5, v[10:11], v[2:3]
	v_add_f64 v[20:21], v[20:21], -v[54:55]
	v_add_f64 v[10:11], v[16:17], -v[18:19]
	;; [unrolled: 1-line block ×3, first 2 shown]
	v_add_f64 v[6:7], v[6:7], v[18:19]
	v_add_f64 v[48:49], v[48:49], -v[116:117]
	v_add_f64 v[54:55], v[10:11], v[54:55]
	v_fma_f64 v[10:11], s[14:15], v[20:21], v[46:47]
	v_fmac_f64_e32 v[46:47], s[8:9], v[20:21]
	v_add_f64 v[6:7], v[6:7], v[40:41]
	v_fmac_f64_e32 v[10:11], s[10:11], v[48:49]
	v_fmac_f64_e32 v[46:47], s[0:1], v[48:49]
	v_add_f64 v[6:7], v[6:7], v[50:51]
	v_fmac_f64_e32 v[10:11], s[2:3], v[54:55]
	v_fmac_f64_e32 v[46:47], s[2:3], v[54:55]
	v_add_f64 v[54:55], v[16:17], v[50:51]
	v_fmac_f64_e32 v[2:3], -0.5, v[54:55]
	ds_write_b128 v180, v[4:7] offset:880
	ds_read_b128 v[4:7], v180 offset:1760
	v_add_f64 v[16:17], v[18:19], -v[16:17]
	v_add_f64 v[18:19], v[40:41], -v[50:51]
	v_fma_f64 v[54:55], s[8:9], v[48:49], v[2:3]
	v_fmac_f64_e32 v[2:3], s[14:15], v[48:49]
	v_add_f64 v[16:17], v[16:17], v[18:19]
	v_fmac_f64_e32 v[54:55], s[10:11], v[20:21]
	v_fmac_f64_e32 v[2:3], s[0:1], v[20:21]
	;; [unrolled: 1-line block ×4, first 2 shown]
	v_add_f64 v[16:17], v[26:27], -v[32:33]
	v_add_f64 v[18:19], v[42:43], -v[38:39]
	v_add_f64 v[18:19], v[16:17], v[18:19]
	v_add_f64 v[16:17], v[32:33], v[38:39]
	ds_write_b128 v180, v[8:11] offset:7040
	ds_read_b128 v[8:11], v180 offset:2640
	s_waitcnt lgkmcnt(2)
	v_fma_f64 v[16:17], -0.5, v[16:17], v[4:5]
	v_add_f64 v[48:49], v[22:23], -v[36:37]
	v_add_f64 v[50:51], v[24:25], -v[28:29]
	v_fma_f64 v[40:41], s[8:9], v[48:49], v[16:17]
	v_fmac_f64_e32 v[16:17], s[14:15], v[48:49]
	v_fmac_f64_e32 v[40:41], s[0:1], v[50:51]
	;; [unrolled: 1-line block ×3, first 2 shown]
	v_add_f64 v[20:21], v[26:27], v[42:43]
	v_fmac_f64_e32 v[40:41], s[2:3], v[18:19]
	v_fmac_f64_e32 v[16:17], s[2:3], v[18:19]
	v_add_f64 v[18:19], v[4:5], v[26:27]
	v_fmac_f64_e32 v[4:5], -0.5, v[20:21]
	v_add_f64 v[20:21], v[32:33], -v[26:27]
	v_add_f64 v[116:117], v[38:39], -v[42:43]
	v_add_f64 v[116:117], v[20:21], v[116:117]
	v_fma_f64 v[20:21], s[14:15], v[50:51], v[4:5]
	v_fmac_f64_e32 v[4:5], s[8:9], v[50:51]
	v_fmac_f64_e32 v[20:21], s[0:1], v[48:49]
	;; [unrolled: 1-line block ×3, first 2 shown]
	v_add_f64 v[18:19], v[18:19], v[32:33]
	v_add_f64 v[48:49], v[6:7], v[22:23]
	;; [unrolled: 1-line block ×7, first 2 shown]
	v_fma_f64 v[18:19], -0.5, v[18:19], v[6:7]
	v_add_f64 v[26:27], v[26:27], -v[42:43]
	v_add_f64 v[32:33], v[32:33], -v[38:39]
	;; [unrolled: 1-line block ×4, first 2 shown]
	v_add_f64 v[38:39], v[38:39], v[42:43]
	v_fma_f64 v[42:43], s[14:15], v[26:27], v[18:19]
	v_fmac_f64_e32 v[18:19], s[8:9], v[26:27]
	v_fmac_f64_e32 v[42:43], s[10:11], v[32:33]
	;; [unrolled: 1-line block ×5, first 2 shown]
	v_add_f64 v[38:39], v[22:23], v[36:37]
	v_fmac_f64_e32 v[6:7], -0.5, v[38:39]
	v_add_f64 v[22:23], v[24:25], -v[22:23]
	v_add_f64 v[24:25], v[28:29], -v[36:37]
	v_add_f64 v[24:25], v[22:23], v[24:25]
	v_fma_f64 v[22:23], s[8:9], v[32:33], v[6:7]
	v_fmac_f64_e32 v[6:7], s[14:15], v[32:33]
	v_fmac_f64_e32 v[22:23], s[10:11], v[26:27]
	;; [unrolled: 1-line block ×5, first 2 shown]
	v_add_f64 v[24:25], v[30:31], -v[60:61]
	v_add_f64 v[26:27], v[74:75], -v[72:73]
	v_add_f64 v[26:27], v[24:25], v[26:27]
	v_add_f64 v[24:25], v[60:61], v[72:73]
	;; [unrolled: 1-line block ×3, first 2 shown]
	s_waitcnt lgkmcnt(0)
	v_fma_f64 v[24:25], -0.5, v[24:25], v[8:9]
	v_add_f64 v[36:37], v[34:35], -v[64:65]
	v_add_f64 v[38:39], v[56:57], -v[58:59]
	v_fma_f64 v[28:29], s[8:9], v[36:37], v[24:25]
	v_fmac_f64_e32 v[24:25], s[14:15], v[36:37]
	v_fmac_f64_e32 v[28:29], s[0:1], v[38:39]
	;; [unrolled: 1-line block ×3, first 2 shown]
	v_add_f64 v[32:33], v[30:31], v[74:75]
	v_fmac_f64_e32 v[20:21], s[2:3], v[116:117]
	v_fmac_f64_e32 v[4:5], s[2:3], v[116:117]
	;; [unrolled: 1-line block ×4, first 2 shown]
	v_add_f64 v[26:27], v[8:9], v[30:31]
	v_fmac_f64_e32 v[8:9], -0.5, v[32:33]
	v_add_f64 v[32:33], v[60:61], -v[30:31]
	v_add_f64 v[116:117], v[72:73], -v[74:75]
	v_add_f64 v[116:117], v[32:33], v[116:117]
	v_fma_f64 v[32:33], s[14:15], v[38:39], v[8:9]
	v_fmac_f64_e32 v[8:9], s[8:9], v[38:39]
	v_fmac_f64_e32 v[32:33], s[0:1], v[36:37]
	;; [unrolled: 1-line block ×3, first 2 shown]
	v_add_f64 v[26:27], v[26:27], v[60:61]
	v_add_f64 v[36:37], v[10:11], v[34:35]
	;; [unrolled: 1-line block ×7, first 2 shown]
	v_fma_f64 v[26:27], -0.5, v[26:27], v[10:11]
	v_add_f64 v[74:75], v[30:31], -v[74:75]
	v_add_f64 v[60:61], v[60:61], -v[72:73]
	;; [unrolled: 1-line block ×4, first 2 shown]
	v_add_f64 v[72:73], v[30:31], v[72:73]
	v_fma_f64 v[30:31], s[14:15], v[74:75], v[26:27]
	v_fmac_f64_e32 v[26:27], s[8:9], v[74:75]
	v_fmac_f64_e32 v[30:31], s[10:11], v[60:61]
	;; [unrolled: 1-line block ×5, first 2 shown]
	v_add_f64 v[72:73], v[34:35], v[64:65]
	v_fmac_f64_e32 v[10:11], -0.5, v[72:73]
	v_add_f64 v[34:35], v[56:57], -v[34:35]
	v_add_f64 v[56:57], v[58:59], -v[64:65]
	ds_write_b128 v180, v[52:55] offset:13200
	ds_read_b128 v[52:55], v180 offset:3520
	v_add_f64 v[56:57], v[34:35], v[56:57]
	v_fma_f64 v[34:35], s[8:9], v[60:61], v[10:11]
	v_fmac_f64_e32 v[10:11], s[14:15], v[60:61]
	v_fmac_f64_e32 v[34:35], s[10:11], v[74:75]
	;; [unrolled: 1-line block ×5, first 2 shown]
	v_add_f64 v[56:57], v[62:63], -v[76:77]
	v_add_f64 v[58:59], v[86:87], -v[84:85]
	v_add_f64 v[58:59], v[56:57], v[58:59]
	v_add_f64 v[56:57], v[76:77], v[84:85]
	ds_write_b128 v180, v[0:3] offset:19360
	ds_read_b128 v[0:3], v180 offset:4400
	s_waitcnt lgkmcnt(2)
	v_fma_f64 v[56:57], -0.5, v[56:57], v[52:53]
	v_add_f64 v[72:73], v[66:67], -v[80:81]
	v_add_f64 v[74:75], v[68:69], -v[70:71]
	v_fma_f64 v[60:61], s[8:9], v[72:73], v[56:57]
	v_fmac_f64_e32 v[56:57], s[14:15], v[72:73]
	v_add_f64 v[38:39], v[38:39], v[64:65]
	v_fmac_f64_e32 v[60:61], s[0:1], v[74:75]
	v_fmac_f64_e32 v[56:57], s[10:11], v[74:75]
	v_add_f64 v[64:65], v[62:63], v[86:87]
	v_fmac_f64_e32 v[32:33], s[2:3], v[116:117]
	v_fmac_f64_e32 v[8:9], s[2:3], v[116:117]
	;; [unrolled: 1-line block ×4, first 2 shown]
	v_add_f64 v[58:59], v[52:53], v[62:63]
	v_fmac_f64_e32 v[52:53], -0.5, v[64:65]
	v_add_f64 v[64:65], v[76:77], -v[62:63]
	v_add_f64 v[116:117], v[84:85], -v[86:87]
	v_add_f64 v[116:117], v[64:65], v[116:117]
	v_fma_f64 v[64:65], s[14:15], v[74:75], v[52:53]
	v_fmac_f64_e32 v[52:53], s[8:9], v[74:75]
	v_fmac_f64_e32 v[64:65], s[0:1], v[72:73]
	;; [unrolled: 1-line block ×3, first 2 shown]
	v_add_f64 v[58:59], v[58:59], v[76:77]
	v_add_f64 v[72:73], v[54:55], v[66:67]
	;; [unrolled: 1-line block ×7, first 2 shown]
	v_fma_f64 v[58:59], -0.5, v[58:59], v[54:55]
	v_add_f64 v[86:87], v[62:63], -v[86:87]
	v_add_f64 v[76:77], v[76:77], -v[84:85]
	;; [unrolled: 1-line block ×4, first 2 shown]
	v_add_f64 v[84:85], v[62:63], v[84:85]
	v_fma_f64 v[62:63], s[14:15], v[86:87], v[58:59]
	v_fmac_f64_e32 v[58:59], s[8:9], v[86:87]
	v_fmac_f64_e32 v[62:63], s[10:11], v[76:77]
	;; [unrolled: 1-line block ×5, first 2 shown]
	v_add_f64 v[84:85], v[66:67], v[80:81]
	v_fmac_f64_e32 v[54:55], -0.5, v[84:85]
	v_add_f64 v[66:67], v[68:69], -v[66:67]
	v_add_f64 v[68:69], v[70:71], -v[80:81]
	v_add_f64 v[68:69], v[66:67], v[68:69]
	v_fma_f64 v[66:67], s[8:9], v[76:77], v[54:55]
	v_fmac_f64_e32 v[54:55], s[14:15], v[76:77]
	v_fmac_f64_e32 v[66:67], s[10:11], v[86:87]
	;; [unrolled: 1-line block ×5, first 2 shown]
	v_add_f64 v[68:69], v[78:79], -v[96:97]
	v_add_f64 v[70:71], v[114:115], -v[112:113]
	v_add_f64 v[70:71], v[68:69], v[70:71]
	v_add_f64 v[68:69], v[96:97], v[112:113]
	s_waitcnt lgkmcnt(0)
	v_fma_f64 v[68:69], -0.5, v[68:69], v[0:1]
	v_add_f64 v[84:85], v[82:83], -v[98:99]
	v_add_f64 v[86:87], v[88:89], -v[92:93]
	v_fma_f64 v[76:77], s[8:9], v[84:85], v[68:69]
	v_fmac_f64_e32 v[68:69], s[14:15], v[84:85]
	v_add_f64 v[74:75], v[74:75], v[80:81]
	v_fmac_f64_e32 v[76:77], s[0:1], v[86:87]
	v_fmac_f64_e32 v[68:69], s[10:11], v[86:87]
	v_add_f64 v[80:81], v[78:79], v[114:115]
	v_fmac_f64_e32 v[64:65], s[2:3], v[116:117]
	v_fmac_f64_e32 v[52:53], s[2:3], v[116:117]
	;; [unrolled: 1-line block ×4, first 2 shown]
	v_add_f64 v[70:71], v[0:1], v[78:79]
	v_fmac_f64_e32 v[0:1], -0.5, v[80:81]
	v_add_f64 v[80:81], v[96:97], -v[78:79]
	v_add_f64 v[116:117], v[112:113], -v[114:115]
	v_add_f64 v[116:117], v[80:81], v[116:117]
	v_fma_f64 v[80:81], s[14:15], v[86:87], v[0:1]
	v_fmac_f64_e32 v[0:1], s[8:9], v[86:87]
	v_fmac_f64_e32 v[80:81], s[0:1], v[84:85]
	;; [unrolled: 1-line block ×3, first 2 shown]
	v_add_f64 v[70:71], v[70:71], v[96:97]
	v_add_f64 v[84:85], v[2:3], v[82:83]
	;; [unrolled: 1-line block ×7, first 2 shown]
	v_fma_f64 v[70:71], -0.5, v[70:71], v[2:3]
	v_add_f64 v[114:115], v[78:79], -v[114:115]
	v_add_f64 v[96:97], v[96:97], -v[112:113]
	;; [unrolled: 1-line block ×4, first 2 shown]
	v_add_f64 v[112:113], v[78:79], v[112:113]
	v_fma_f64 v[78:79], s[14:15], v[114:115], v[70:71]
	v_fmac_f64_e32 v[70:71], s[8:9], v[114:115]
	v_fmac_f64_e32 v[78:79], s[10:11], v[96:97]
	;; [unrolled: 1-line block ×5, first 2 shown]
	v_add_f64 v[112:113], v[82:83], v[98:99]
	v_fmac_f64_e32 v[2:3], -0.5, v[112:113]
	v_add_f64 v[82:83], v[88:89], -v[82:83]
	v_add_f64 v[88:89], v[92:93], -v[98:99]
	v_add_f64 v[88:89], v[82:83], v[88:89]
	v_fma_f64 v[82:83], s[8:9], v[96:97], v[2:3]
	v_fmac_f64_e32 v[2:3], s[14:15], v[96:97]
	v_fmac_f64_e32 v[82:83], s[10:11], v[114:115]
	;; [unrolled: 1-line block ×5, first 2 shown]
	v_add_f64 v[88:89], v[104:105], v[108:109]
	ds_write_b128 v180, v[44:47] offset:25520
	v_add_f64 v[44:45], v[90:91], -v[104:105]
	v_add_f64 v[46:47], v[110:111], -v[108:109]
	v_add_f64 v[46:47], v[44:45], v[46:47]
	v_fma_f64 v[44:45], -0.5, v[88:89], v[12:13]
	v_add_f64 v[96:97], v[94:95], -v[106:107]
	v_add_f64 v[86:87], v[86:87], v[98:99]
	v_add_f64 v[98:99], v[100:101], -v[102:103]
	v_fma_f64 v[88:89], s[8:9], v[96:97], v[44:45]
	v_fmac_f64_e32 v[44:45], s[14:15], v[96:97]
	v_fmac_f64_e32 v[88:89], s[0:1], v[98:99]
	;; [unrolled: 1-line block ×3, first 2 shown]
	v_add_f64 v[92:93], v[90:91], v[110:111]
	v_fmac_f64_e32 v[88:89], s[2:3], v[46:47]
	v_fmac_f64_e32 v[44:45], s[2:3], v[46:47]
	v_add_f64 v[46:47], v[12:13], v[90:91]
	v_fmac_f64_e32 v[12:13], -0.5, v[92:93]
	v_add_f64 v[92:93], v[104:105], -v[90:91]
	v_add_f64 v[112:113], v[108:109], -v[110:111]
	v_add_f64 v[112:113], v[92:93], v[112:113]
	v_fma_f64 v[92:93], s[14:15], v[98:99], v[12:13]
	v_fmac_f64_e32 v[12:13], s[8:9], v[98:99]
	v_fmac_f64_e32 v[92:93], s[0:1], v[96:97]
	;; [unrolled: 1-line block ×3, first 2 shown]
	v_add_f64 v[46:47], v[46:47], v[104:105]
	v_add_f64 v[96:97], v[14:15], v[94:95]
	;; [unrolled: 1-line block ×7, first 2 shown]
	v_fma_f64 v[46:47], -0.5, v[46:47], v[14:15]
	v_add_f64 v[110:111], v[90:91], -v[110:111]
	v_add_f64 v[104:105], v[104:105], -v[108:109]
	;; [unrolled: 1-line block ×4, first 2 shown]
	v_add_f64 v[108:109], v[90:91], v[108:109]
	v_fma_f64 v[90:91], s[14:15], v[110:111], v[46:47]
	v_fmac_f64_e32 v[46:47], s[8:9], v[110:111]
	v_fmac_f64_e32 v[90:91], s[10:11], v[104:105]
	;; [unrolled: 1-line block ×5, first 2 shown]
	v_add_f64 v[108:109], v[94:95], v[106:107]
	v_fmac_f64_e32 v[14:15], -0.5, v[108:109]
	v_add_f64 v[94:95], v[100:101], -v[94:95]
	v_add_f64 v[100:101], v[102:103], -v[106:107]
	v_add_f64 v[98:99], v[98:99], v[106:107]
	v_add_f64 v[106:107], v[94:95], v[100:101]
	v_fma_f64 v[94:95], s[8:9], v[104:105], v[14:15]
	v_fmac_f64_e32 v[14:15], s[14:15], v[104:105]
	v_fmac_f64_e32 v[12:13], s[2:3], v[112:113]
	;; [unrolled: 1-line block ×9, first 2 shown]
	ds_write_b128 v180, v[48:51] offset:1760
	ds_write_b128 v180, v[40:43] offset:7920
	ds_write_b128 v180, v[20:23] offset:14080
	ds_write_b128 v180, v[4:7] offset:20240
	ds_write_b128 v180, v[16:19] offset:26400
	ds_write_b128 v180, v[36:39] offset:2640
	ds_write_b128 v180, v[28:31] offset:8800
	ds_write_b128 v180, v[32:35] offset:14960
	ds_write_b128 v180, v[8:11] offset:21120
	ds_write_b128 v180, v[24:27] offset:27280
	ds_write_b128 v180, v[72:75] offset:3520
	ds_write_b128 v180, v[60:63] offset:9680
	ds_write_b128 v180, v[64:67] offset:15840
	ds_write_b128 v180, v[52:55] offset:22000
	ds_write_b128 v180, v[56:59] offset:28160
	ds_write_b128 v180, v[84:87] offset:4400
	ds_write_b128 v180, v[76:79] offset:10560
	ds_write_b128 v180, v[80:83] offset:16720
	ds_write_b128 v180, v[0:3] offset:22880
	ds_write_b128 v180, v[68:71] offset:29040
	ds_write_b128 v180, v[96:99] offset:5280
	ds_write_b128 v180, v[88:91] offset:11440
	ds_write_b128 v180, v[92:95] offset:17600
	ds_write_b128 v180, v[12:15] offset:23760
	ds_write_b128 v180, v[44:47] offset:29920
	s_waitcnt lgkmcnt(0)
	; wave barrier
	s_waitcnt lgkmcnt(0)
	scratch_load_dwordx4 v[10:13], off, off offset:264 ; 16-byte Folded Reload
	scratch_load_dwordx4 v[16:19], off, off ; 16-byte Folded Reload
	scratch_load_dwordx4 v[20:23], off, off offset:16 ; 16-byte Folded Reload
	scratch_load_dwordx4 v[26:29], off, off offset:32 ; 16-byte Folded Reload
	;; [unrolled: 1-line block ×5, first 2 shown]
	ds_read_b128 v[4:7], v180
	v_accvgpr_read_b32 v108, a248
	v_mad_u64_u32 v[102:103], s[0:1], s6, v108, 0
	v_mov_b32_e32 v104, v103
	v_mad_u64_u32 v[0:1], s[0:1], s7, v108, v[104:105]
	v_mov_b32_e32 v103, v0
	ds_read_b128 v[0:3], v180 offset:880
	s_mov_b32 s0, 0xebc93598
	s_mov_b32 s1, 0x3f4105b7
	v_mov_b32_e32 v100, s12
	v_mov_b32_e32 v101, s13
	v_lshl_add_u64 v[14:15], v[102:103], 4, v[100:101]
	v_mov_b32_e32 v38, 0x1130
	v_mov_b32_e32 v39, 0xffff9c50
	s_waitcnt vmcnt(6) lgkmcnt(1)
	v_mul_f64 v[8:9], v[12:13], v[6:7]
	v_fmac_f64_e32 v[8:9], v[10:11], v[4:5]
	v_mul_f64 v[4:5], v[12:13], v[4:5]
	v_fma_f64 v[4:5], v[10:11], v[6:7], -v[4:5]
	v_accvgpr_read_b32 v6, a40
	v_mad_u64_u32 v[12:13], s[2:3], s4, v6, 0
	v_mul_f64 v[10:11], v[4:5], s[0:1]
	v_mov_b32_e32 v4, v13
	v_mad_u64_u32 v[4:5], s[2:3], s5, v6, v[4:5]
	v_mov_b32_e32 v13, v4
	ds_read_b128 v[4:7], v180 offset:4400
	v_mul_f64 v[8:9], v[8:9], s[0:1]
	v_lshl_add_u64 v[12:13], v[12:13], 4, v[14:15]
	global_store_dwordx4 v[12:13], v[8:11], off
	ds_read_b128 v[8:11], v180 offset:3520
	s_waitcnt vmcnt(6) lgkmcnt(1)
	v_mul_f64 v[14:15], v[18:19], v[6:7]
	v_fmac_f64_e32 v[14:15], v[16:17], v[4:5]
	v_mul_f64 v[4:5], v[18:19], v[4:5]
	v_fma_f64 v[4:5], v[16:17], v[6:7], -v[4:5]
	v_mul_f64 v[16:17], v[4:5], s[0:1]
	ds_read_b128 v[4:7], v180 offset:8800
	v_mad_u64_u32 v[24:25], s[2:3], s4, v38, v[12:13]
	s_mul_i32 s2, s5, 0x1130
	v_mul_f64 v[14:15], v[14:15], s[0:1]
	v_add_u32_e32 v25, s2, v25
	global_store_dwordx4 v[24:25], v[14:17], off
	ds_read_b128 v[16:19], v180 offset:9680
	s_waitcnt vmcnt(6) lgkmcnt(1)
	v_mul_f64 v[12:13], v[22:23], v[6:7]
	v_fmac_f64_e32 v[12:13], v[20:21], v[4:5]
	v_mul_f64 v[4:5], v[22:23], v[4:5]
	v_fma_f64 v[4:5], v[20:21], v[6:7], -v[4:5]
	ds_read_b128 v[20:23], v180 offset:13200
	v_mad_u64_u32 v[24:25], s[6:7], s4, v38, v[24:25]
	v_mul_f64 v[12:13], v[12:13], s[0:1]
	v_mul_f64 v[14:15], v[4:5], s[0:1]
	ds_read_b128 v[4:7], v180 offset:12320
	v_add_u32_e32 v25, s2, v25
	global_store_dwordx4 v[24:25], v[12:15], off
	s_mul_i32 s3, s5, 0xffff9c50
	s_sub_i32 s3, s3, s4
	s_waitcnt vmcnt(6) lgkmcnt(1)
	v_mul_f64 v[12:13], v[28:29], v[22:23]
	v_mul_f64 v[14:15], v[28:29], v[20:21]
	v_fmac_f64_e32 v[12:13], v[26:27], v[20:21]
	v_fma_f64 v[14:15], v[26:27], v[22:23], -v[14:15]
	ds_read_b128 v[20:23], v180 offset:17600
	v_mad_u64_u32 v[28:29], s[6:7], s4, v38, v[24:25]
	ds_read_b128 v[24:27], v180 offset:18480
	v_mul_f64 v[12:13], v[12:13], s[0:1]
	v_mul_f64 v[14:15], v[14:15], s[0:1]
	v_add_u32_e32 v29, s2, v29
	global_store_dwordx4 v[28:29], v[12:15], off
	s_waitcnt vmcnt(5) lgkmcnt(1)
	s_nop 0
	v_mul_f64 v[12:13], v[32:33], v[22:23]
	v_mul_f64 v[14:15], v[32:33], v[20:21]
	v_fmac_f64_e32 v[12:13], v[30:31], v[20:21]
	v_fma_f64 v[14:15], v[30:31], v[22:23], -v[14:15]
	ds_read_b128 v[20:23], v180 offset:22000
	v_mad_u64_u32 v[32:33], s[6:7], s4, v38, v[28:29]
	v_mul_f64 v[12:13], v[12:13], s[0:1]
	v_mul_f64 v[14:15], v[14:15], s[0:1]
	v_add_u32_e32 v33, s2, v33
	global_store_dwordx4 v[32:33], v[12:15], off
	ds_read_b128 v[12:15], v180 offset:21120
	s_waitcnt lgkmcnt(1)
	v_mul_f64 v[28:29], v[36:37], v[22:23]
	v_fmac_f64_e32 v[28:29], v[34:35], v[20:21]
	v_mul_f64 v[20:21], v[36:37], v[20:21]
	v_fma_f64 v[20:21], v[34:35], v[22:23], -v[20:21]
	v_mul_f64 v[30:31], v[20:21], s[0:1]
	ds_read_b128 v[20:23], v180 offset:26400
	v_mad_u64_u32 v[36:37], s[6:7], s4, v38, v[32:33]
	v_mul_f64 v[28:29], v[28:29], s[0:1]
	v_add_u32_e32 v37, s2, v37
	global_store_dwordx4 v[36:37], v[28:31], off
	ds_read_b128 v[28:31], v180 offset:27280
	s_waitcnt vmcnt(6) lgkmcnt(1)
	v_mul_f64 v[32:33], v[42:43], v[22:23]
	v_fmac_f64_e32 v[32:33], v[40:41], v[20:21]
	v_mul_f64 v[20:21], v[42:43], v[20:21]
	v_fma_f64 v[20:21], v[40:41], v[22:23], -v[20:21]
	v_mad_u64_u32 v[36:37], s[6:7], s4, v38, v[36:37]
	v_mul_f64 v[32:33], v[32:33], s[0:1]
	v_mul_f64 v[34:35], v[20:21], s[0:1]
	v_add_u32_e32 v37, s2, v37
	global_store_dwordx4 v[36:37], v[32:35], off
	scratch_load_dwordx4 v[32:35], off, off offset:96 ; 16-byte Folded Reload
	v_mad_u64_u32 v[36:37], s[6:7], s4, v39, v[36:37]
	scratch_load_dwordx4 v[40:43], off, off offset:112 ; 16-byte Folded Reload
	v_add_u32_e32 v37, s3, v37
	s_waitcnt vmcnt(1)
	v_mul_f64 v[20:21], v[34:35], v[2:3]
	v_fmac_f64_e32 v[20:21], v[32:33], v[0:1]
	v_mul_f64 v[0:1], v[34:35], v[0:1]
	v_fma_f64 v[0:1], v[32:33], v[2:3], -v[0:1]
	v_mul_f64 v[22:23], v[0:1], s[0:1]
	ds_read_b128 v[0:3], v180 offset:5280
	v_mul_f64 v[20:21], v[20:21], s[0:1]
	global_store_dwordx4 v[36:37], v[20:23], off
	ds_read_b128 v[20:23], v180 offset:6160
	v_mad_u64_u32 v[36:37], s[6:7], s4, v38, v[36:37]
	s_waitcnt vmcnt(1) lgkmcnt(1)
	v_mul_f64 v[32:33], v[42:43], v[2:3]
	v_fmac_f64_e32 v[32:33], v[40:41], v[0:1]
	v_mul_f64 v[0:1], v[42:43], v[0:1]
	v_fma_f64 v[0:1], v[40:41], v[2:3], -v[0:1]
	v_mul_f64 v[32:33], v[32:33], s[0:1]
	v_mul_f64 v[34:35], v[0:1], s[0:1]
	v_add_u32_e32 v37, s2, v37
	global_store_dwordx4 v[36:37], v[32:35], off
	scratch_load_dwordx4 v[32:35], off, off offset:128 ; 16-byte Folded Reload
	v_mad_u64_u32 v[36:37], s[6:7], s4, v38, v[36:37]
	scratch_load_dwordx4 v[40:43], off, off offset:144 ; 16-byte Folded Reload
	v_add_u32_e32 v37, s2, v37
	s_waitcnt vmcnt(1)
	v_mul_f64 v[0:1], v[34:35], v[18:19]
	v_mul_f64 v[2:3], v[34:35], v[16:17]
	v_fmac_f64_e32 v[0:1], v[32:33], v[16:17]
	v_fma_f64 v[2:3], v[32:33], v[18:19], -v[2:3]
	ds_read_b128 v[16:19], v180 offset:14080
	v_mul_f64 v[0:1], v[0:1], s[0:1]
	v_mul_f64 v[2:3], v[2:3], s[0:1]
	global_store_dwordx4 v[36:37], v[0:3], off
	ds_read_b128 v[0:3], v180 offset:14960
	s_waitcnt vmcnt(1) lgkmcnt(1)
	v_mul_f64 v[32:33], v[42:43], v[18:19]
	v_fmac_f64_e32 v[32:33], v[40:41], v[16:17]
	v_mul_f64 v[16:17], v[42:43], v[16:17]
	v_fma_f64 v[16:17], v[40:41], v[18:19], -v[16:17]
	v_mad_u64_u32 v[36:37], s[6:7], s4, v38, v[36:37]
	v_mul_f64 v[32:33], v[32:33], s[0:1]
	v_mul_f64 v[34:35], v[16:17], s[0:1]
	v_add_u32_e32 v37, s2, v37
	global_store_dwordx4 v[36:37], v[32:35], off
	scratch_load_dwordx4 v[32:35], off, off offset:160 ; 16-byte Folded Reload
	v_mad_u64_u32 v[36:37], s[6:7], s4, v38, v[36:37]
	scratch_load_dwordx4 v[40:43], off, off offset:176 ; 16-byte Folded Reload
	v_add_u32_e32 v37, s2, v37
	s_waitcnt vmcnt(1)
	v_mul_f64 v[16:17], v[34:35], v[26:27]
	v_mul_f64 v[18:19], v[34:35], v[24:25]
	v_fmac_f64_e32 v[16:17], v[32:33], v[24:25]
	v_fma_f64 v[18:19], v[32:33], v[26:27], -v[18:19]
	ds_read_b128 v[24:27], v180 offset:22880
	v_mul_f64 v[16:17], v[16:17], s[0:1]
	v_mul_f64 v[18:19], v[18:19], s[0:1]
	global_store_dwordx4 v[36:37], v[16:19], off
	ds_read_b128 v[16:19], v180 offset:23760
	s_waitcnt vmcnt(1) lgkmcnt(1)
	v_mul_f64 v[32:33], v[42:43], v[26:27]
	v_fmac_f64_e32 v[32:33], v[40:41], v[24:25]
	v_mul_f64 v[24:25], v[42:43], v[24:25]
	v_fma_f64 v[24:25], v[40:41], v[26:27], -v[24:25]
	v_mad_u64_u32 v[36:37], s[6:7], s4, v38, v[36:37]
	;; [unrolled: 24-line block ×3, first 2 shown]
	v_mul_f64 v[32:33], v[32:33], s[0:1]
	v_mul_f64 v[34:35], v[28:29], s[0:1]
	v_add_u32_e32 v37, s3, v37
	global_store_dwordx4 v[36:37], v[32:35], off
	scratch_load_dwordx4 v[30:33], off, off offset:232 ; 16-byte Folded Reload
	v_mad_u64_u32 v[36:37], s[6:7], s4, v38, v[36:37]
	scratch_load_dwordx4 v[40:43], off, off offset:248 ; 16-byte Folded Reload
	v_add_u32_e32 v37, s2, v37
	s_waitcnt vmcnt(1)
	v_mul_f64 v[28:29], v[32:33], v[22:23]
	v_fmac_f64_e32 v[28:29], v[30:31], v[20:21]
	v_mul_f64 v[20:21], v[32:33], v[20:21]
	v_fma_f64 v[20:21], v[30:31], v[22:23], -v[20:21]
	v_mul_f64 v[30:31], v[20:21], s[0:1]
	ds_read_b128 v[20:23], v180 offset:10560
	v_mul_f64 v[28:29], v[28:29], s[0:1]
	global_store_dwordx4 v[36:37], v[28:31], off
	ds_read_b128 v[28:31], v180 offset:11440
	v_mad_u64_u32 v[36:37], s[6:7], s4, v38, v[36:37]
	s_waitcnt vmcnt(1) lgkmcnt(1)
	v_mul_f64 v[32:33], v[42:43], v[22:23]
	v_fmac_f64_e32 v[32:33], v[40:41], v[20:21]
	v_mul_f64 v[20:21], v[42:43], v[20:21]
	v_fma_f64 v[20:21], v[40:41], v[22:23], -v[20:21]
	v_mul_f64 v[32:33], v[32:33], s[0:1]
	v_mul_f64 v[34:35], v[20:21], s[0:1]
	v_add_u32_e32 v37, s2, v37
	global_store_dwordx4 v[36:37], v[32:35], off
	scratch_load_dwordx4 v[32:35], off, off offset:280 ; 16-byte Folded Reload
	v_mad_u64_u32 v[36:37], s[6:7], s4, v38, v[36:37]
	scratch_load_dwordx4 v[40:43], off, off offset:296 ; 16-byte Folded Reload
	v_add_u32_e32 v37, s2, v37
	s_waitcnt vmcnt(1)
	v_mul_f64 v[20:21], v[34:35], v[2:3]
	v_fmac_f64_e32 v[20:21], v[32:33], v[0:1]
	v_mul_f64 v[0:1], v[34:35], v[0:1]
	v_fma_f64 v[0:1], v[32:33], v[2:3], -v[0:1]
	v_mul_f64 v[22:23], v[0:1], s[0:1]
	ds_read_b128 v[0:3], v180 offset:19360
	v_mul_f64 v[20:21], v[20:21], s[0:1]
	global_store_dwordx4 v[36:37], v[20:23], off
	ds_read_b128 v[20:23], v180 offset:20240
	v_mad_u64_u32 v[36:37], s[6:7], s4, v38, v[36:37]
	s_waitcnt vmcnt(1) lgkmcnt(1)
	v_mul_f64 v[32:33], v[42:43], v[2:3]
	v_fmac_f64_e32 v[32:33], v[40:41], v[0:1]
	v_mul_f64 v[0:1], v[42:43], v[0:1]
	v_fma_f64 v[0:1], v[40:41], v[2:3], -v[0:1]
	v_mul_f64 v[32:33], v[32:33], s[0:1]
	v_mul_f64 v[34:35], v[0:1], s[0:1]
	v_add_u32_e32 v37, s2, v37
	global_store_dwordx4 v[36:37], v[32:35], off
	scratch_load_dwordx4 v[32:35], off, off offset:312 ; 16-byte Folded Reload
	v_mad_u64_u32 v[36:37], s[6:7], s4, v38, v[36:37]
	scratch_load_dwordx4 v[40:43], off, off offset:328 ; 16-byte Folded Reload
	v_add_u32_e32 v37, s2, v37
	s_waitcnt vmcnt(1)
	v_mul_f64 v[0:1], v[34:35], v[18:19]
	v_mul_f64 v[2:3], v[34:35], v[16:17]
	v_fmac_f64_e32 v[0:1], v[32:33], v[16:17]
	v_fma_f64 v[2:3], v[32:33], v[18:19], -v[2:3]
	ds_read_b128 v[16:19], v180 offset:28160
	v_mul_f64 v[0:1], v[0:1], s[0:1]
	v_mul_f64 v[2:3], v[2:3], s[0:1]
	global_store_dwordx4 v[36:37], v[0:3], off
	ds_read_b128 v[0:3], v180 offset:29040
	s_waitcnt vmcnt(1) lgkmcnt(1)
	v_mul_f64 v[32:33], v[42:43], v[18:19]
	v_fmac_f64_e32 v[32:33], v[40:41], v[16:17]
	v_mul_f64 v[16:17], v[42:43], v[16:17]
	v_fma_f64 v[16:17], v[40:41], v[18:19], -v[16:17]
	v_mad_u64_u32 v[36:37], s[6:7], s4, v38, v[36:37]
	v_mul_f64 v[32:33], v[32:33], s[0:1]
	v_mul_f64 v[34:35], v[16:17], s[0:1]
	v_add_u32_e32 v37, s2, v37
	global_store_dwordx4 v[36:37], v[32:35], off
	scratch_load_dwordx4 v[32:35], off, off offset:360 ; 16-byte Folded Reload
	v_mad_u64_u32 v[36:37], s[6:7], s4, v39, v[36:37]
	scratch_load_dwordx4 v[40:43], off, off offset:376 ; 16-byte Folded Reload
	v_add_u32_e32 v37, s3, v37
	s_waitcnt vmcnt(1)
	v_mul_f64 v[16:17], v[34:35], v[26:27]
	v_mul_f64 v[18:19], v[34:35], v[24:25]
	v_fmac_f64_e32 v[16:17], v[32:33], v[24:25]
	v_fma_f64 v[18:19], v[32:33], v[26:27], -v[18:19]
	ds_read_b128 v[24:27], v180 offset:7040
	v_mul_f64 v[16:17], v[16:17], s[0:1]
	v_mul_f64 v[18:19], v[18:19], s[0:1]
	global_store_dwordx4 v[36:37], v[16:19], off
	ds_read_b128 v[16:19], v180 offset:7920
	s_waitcnt vmcnt(1) lgkmcnt(1)
	v_mul_f64 v[32:33], v[42:43], v[26:27]
	v_fmac_f64_e32 v[32:33], v[40:41], v[24:25]
	v_mul_f64 v[24:25], v[42:43], v[24:25]
	v_fma_f64 v[24:25], v[40:41], v[26:27], -v[24:25]
	v_mad_u64_u32 v[36:37], s[6:7], s4, v38, v[36:37]
	;; [unrolled: 24-line block ×3, first 2 shown]
	v_mul_f64 v[32:33], v[32:33], s[0:1]
	v_mul_f64 v[34:35], v[28:29], s[0:1]
	v_add_u32_e32 v37, s2, v37
	global_store_dwordx4 v[36:37], v[32:35], off
	scratch_load_dwordx4 v[30:33], off, off offset:456 ; 16-byte Folded Reload
	v_mad_u64_u32 v[36:37], s[6:7], s4, v38, v[36:37]
	scratch_load_dwordx4 v[40:43], off, off offset:344 ; 16-byte Folded Reload
	v_add_u32_e32 v37, s2, v37
	s_waitcnt vmcnt(1)
	v_mul_f64 v[28:29], v[32:33], v[22:23]
	v_fmac_f64_e32 v[28:29], v[30:31], v[20:21]
	v_mul_f64 v[20:21], v[32:33], v[20:21]
	v_fma_f64 v[20:21], v[30:31], v[22:23], -v[20:21]
	v_mul_f64 v[30:31], v[20:21], s[0:1]
	ds_read_b128 v[20:23], v180 offset:24640
	v_mul_f64 v[28:29], v[28:29], s[0:1]
	global_store_dwordx4 v[36:37], v[28:31], off
	ds_read_b128 v[28:31], v180 offset:25520
	v_mad_u64_u32 v[36:37], s[6:7], s4, v38, v[36:37]
	s_waitcnt vmcnt(1) lgkmcnt(1)
	v_mul_f64 v[32:33], v[42:43], v[22:23]
	v_fmac_f64_e32 v[32:33], v[40:41], v[20:21]
	v_mul_f64 v[20:21], v[42:43], v[20:21]
	v_fma_f64 v[20:21], v[40:41], v[22:23], -v[20:21]
	v_mul_f64 v[32:33], v[32:33], s[0:1]
	v_mul_f64 v[34:35], v[20:21], s[0:1]
	v_add_u32_e32 v37, s2, v37
	global_store_dwordx4 v[36:37], v[32:35], off
	scratch_load_dwordx4 v[32:35], off, off offset:392 ; 16-byte Folded Reload
	s_waitcnt vmcnt(0)
	v_mul_f64 v[20:21], v[34:35], v[2:3]
	v_fmac_f64_e32 v[20:21], v[32:33], v[0:1]
	v_mul_f64 v[0:1], v[34:35], v[0:1]
	v_fma_f64 v[0:1], v[32:33], v[2:3], -v[0:1]
	v_mad_u64_u32 v[32:33], s[6:7], s4, v38, v[36:37]
	v_mul_f64 v[20:21], v[20:21], s[0:1]
	v_mul_f64 v[22:23], v[0:1], s[0:1]
	v_add_u32_e32 v33, s2, v33
	global_store_dwordx4 v[32:33], v[20:23], off
	scratch_load_dwordx4 v[20:23], off, off offset:440 ; 16-byte Folded Reload
	s_waitcnt vmcnt(0)
	v_mul_f64 v[0:1], v[22:23], v[10:11]
	v_mul_f64 v[2:3], v[22:23], v[8:9]
	v_fmac_f64_e32 v[0:1], v[20:21], v[8:9]
	v_fma_f64 v[2:3], v[20:21], v[10:11], -v[2:3]
	scratch_load_dwordx4 v[20:23], off, off offset:472 ; 16-byte Folded Reload
	v_mad_u64_u32 v[8:9], s[6:7], s4, v39, v[32:33]
	v_mul_f64 v[0:1], v[0:1], s[0:1]
	v_mul_f64 v[2:3], v[2:3], s[0:1]
	v_add_u32_e32 v9, s3, v9
	global_store_dwordx4 v[8:9], v[0:3], off
	v_mad_u64_u32 v[8:9], s[6:7], s4, v38, v[8:9]
	v_add_u32_e32 v9, s2, v9
	s_waitcnt vmcnt(1)
	v_mul_f64 v[0:1], v[22:23], v[18:19]
	v_mul_f64 v[2:3], v[22:23], v[16:17]
	v_fmac_f64_e32 v[0:1], v[20:21], v[16:17]
	v_fma_f64 v[2:3], v[20:21], v[18:19], -v[2:3]
	scratch_load_dwordx4 v[16:19], off, off offset:488 ; 16-byte Folded Reload
	v_mul_f64 v[0:1], v[0:1], s[0:1]
	v_mul_f64 v[2:3], v[2:3], s[0:1]
	global_store_dwordx4 v[8:9], v[0:3], off
	s_waitcnt vmcnt(1)
	s_nop 0
	v_mul_f64 v[0:1], v[18:19], v[6:7]
	v_mul_f64 v[2:3], v[18:19], v[4:5]
	v_fmac_f64_e32 v[0:1], v[16:17], v[4:5]
	v_fma_f64 v[2:3], v[16:17], v[6:7], -v[2:3]
	v_mad_u64_u32 v[4:5], s[6:7], s4, v38, v[8:9]
	scratch_load_dwordx4 v[6:9], off, off offset:504 ; 16-byte Folded Reload
	v_mul_f64 v[0:1], v[0:1], s[0:1]
	v_mul_f64 v[2:3], v[2:3], s[0:1]
	v_add_u32_e32 v5, s2, v5
	global_store_dwordx4 v[4:5], v[0:3], off
	v_mad_u64_u32 v[4:5], s[6:7], s4, v38, v[4:5]
	v_add_u32_e32 v5, s2, v5
	s_waitcnt vmcnt(1)
	v_mul_f64 v[0:1], v[8:9], v[26:27]
	v_mul_f64 v[2:3], v[8:9], v[24:25]
	v_fmac_f64_e32 v[0:1], v[6:7], v[24:25]
	v_fma_f64 v[2:3], v[6:7], v[26:27], -v[2:3]
	scratch_load_dwordx4 v[6:9], off, off offset:520 ; 16-byte Folded Reload
	v_mul_f64 v[0:1], v[0:1], s[0:1]
	v_mul_f64 v[2:3], v[2:3], s[0:1]
	global_store_dwordx4 v[4:5], v[0:3], off
	s_waitcnt vmcnt(1)
	s_nop 0
	v_mul_f64 v[0:1], v[8:9], v[14:15]
	v_mul_f64 v[2:3], v[8:9], v[12:13]
	v_fmac_f64_e32 v[0:1], v[6:7], v[12:13]
	v_fma_f64 v[2:3], v[6:7], v[14:15], -v[2:3]
	v_mad_u64_u32 v[8:9], s[6:7], s4, v38, v[4:5]
	scratch_load_dwordx4 v[4:7], off, off offset:536 ; 16-byte Folded Reload
	scratch_load_dwordx4 v[10:13], off, off offset:552 ; 16-byte Folded Reload
	v_mul_f64 v[0:1], v[0:1], s[0:1]
	v_mul_f64 v[2:3], v[2:3], s[0:1]
	v_add_u32_e32 v9, s2, v9
	global_store_dwordx4 v[8:9], v[0:3], off
	v_mad_u64_u32 v[8:9], s[6:7], s4, v38, v[8:9]
	v_add_u32_e32 v9, s2, v9
	s_waitcnt vmcnt(2) lgkmcnt(0)
	v_mul_f64 v[0:1], v[6:7], v[30:31]
	v_mul_f64 v[2:3], v[6:7], v[28:29]
	v_fmac_f64_e32 v[0:1], v[4:5], v[28:29]
	v_fma_f64 v[2:3], v[4:5], v[30:31], -v[2:3]
	ds_read_b128 v[4:7], v180 offset:29920
	v_mul_f64 v[0:1], v[0:1], s[0:1]
	v_mul_f64 v[2:3], v[2:3], s[0:1]
	global_store_dwordx4 v[8:9], v[0:3], off
	s_waitcnt vmcnt(2) lgkmcnt(0)
	s_nop 0
	v_mul_f64 v[0:1], v[12:13], v[6:7]
	v_mul_f64 v[2:3], v[12:13], v[4:5]
	v_fmac_f64_e32 v[0:1], v[10:11], v[4:5]
	v_fma_f64 v[2:3], v[10:11], v[6:7], -v[2:3]
	v_mul_f64 v[0:1], v[0:1], s[0:1]
	v_mul_f64 v[2:3], v[2:3], s[0:1]
	v_mad_u64_u32 v[4:5], s[0:1], s4, v38, v[8:9]
	v_add_u32_e32 v5, s2, v5
	global_store_dwordx4 v[4:5], v[0:3], off
.LBB0_10:
	s_endpgm
	.section	.rodata,"a",@progbits
	.p2align	6, 0x0
	.amdhsa_kernel bluestein_single_fwd_len1925_dim1_dp_op_CI_CI
		.amdhsa_group_segment_fixed_size 30800
		.amdhsa_private_segment_fixed_size 1052
		.amdhsa_kernarg_size 104
		.amdhsa_user_sgpr_count 2
		.amdhsa_user_sgpr_dispatch_ptr 0
		.amdhsa_user_sgpr_queue_ptr 0
		.amdhsa_user_sgpr_kernarg_segment_ptr 1
		.amdhsa_user_sgpr_dispatch_id 0
		.amdhsa_user_sgpr_kernarg_preload_length 0
		.amdhsa_user_sgpr_kernarg_preload_offset 0
		.amdhsa_user_sgpr_private_segment_size 0
		.amdhsa_uses_dynamic_stack 0
		.amdhsa_enable_private_segment 1
		.amdhsa_system_sgpr_workgroup_id_x 1
		.amdhsa_system_sgpr_workgroup_id_y 0
		.amdhsa_system_sgpr_workgroup_id_z 0
		.amdhsa_system_sgpr_workgroup_info 0
		.amdhsa_system_vgpr_workitem_id 0
		.amdhsa_next_free_vgpr 512
		.amdhsa_next_free_sgpr 40
		.amdhsa_accum_offset 256
		.amdhsa_reserve_vcc 1
		.amdhsa_float_round_mode_32 0
		.amdhsa_float_round_mode_16_64 0
		.amdhsa_float_denorm_mode_32 3
		.amdhsa_float_denorm_mode_16_64 3
		.amdhsa_dx10_clamp 1
		.amdhsa_ieee_mode 1
		.amdhsa_fp16_overflow 0
		.amdhsa_tg_split 0
		.amdhsa_exception_fp_ieee_invalid_op 0
		.amdhsa_exception_fp_denorm_src 0
		.amdhsa_exception_fp_ieee_div_zero 0
		.amdhsa_exception_fp_ieee_overflow 0
		.amdhsa_exception_fp_ieee_underflow 0
		.amdhsa_exception_fp_ieee_inexact 0
		.amdhsa_exception_int_div_zero 0
	.end_amdhsa_kernel
	.text
.Lfunc_end0:
	.size	bluestein_single_fwd_len1925_dim1_dp_op_CI_CI, .Lfunc_end0-bluestein_single_fwd_len1925_dim1_dp_op_CI_CI
                                        ; -- End function
	.section	.AMDGPU.csdata,"",@progbits
; Kernel info:
; codeLenInByte = 61368
; NumSgprs: 46
; NumVgprs: 256
; NumAgprs: 256
; TotalNumVgprs: 512
; ScratchSize: 1052
; MemoryBound: 0
; FloatMode: 240
; IeeeMode: 1
; LDSByteSize: 30800 bytes/workgroup (compile time only)
; SGPRBlocks: 5
; VGPRBlocks: 63
; NumSGPRsForWavesPerEU: 46
; NumVGPRsForWavesPerEU: 512
; AccumOffset: 256
; Occupancy: 1
; WaveLimiterHint : 1
; COMPUTE_PGM_RSRC2:SCRATCH_EN: 1
; COMPUTE_PGM_RSRC2:USER_SGPR: 2
; COMPUTE_PGM_RSRC2:TRAP_HANDLER: 0
; COMPUTE_PGM_RSRC2:TGID_X_EN: 1
; COMPUTE_PGM_RSRC2:TGID_Y_EN: 0
; COMPUTE_PGM_RSRC2:TGID_Z_EN: 0
; COMPUTE_PGM_RSRC2:TIDIG_COMP_CNT: 0
; COMPUTE_PGM_RSRC3_GFX90A:ACCUM_OFFSET: 63
; COMPUTE_PGM_RSRC3_GFX90A:TG_SPLIT: 0
	.text
	.p2alignl 6, 3212836864
	.fill 256, 4, 3212836864
	.type	__hip_cuid_39a4cf2afdce2647,@object ; @__hip_cuid_39a4cf2afdce2647
	.section	.bss,"aw",@nobits
	.globl	__hip_cuid_39a4cf2afdce2647
__hip_cuid_39a4cf2afdce2647:
	.byte	0                               ; 0x0
	.size	__hip_cuid_39a4cf2afdce2647, 1

	.ident	"AMD clang version 19.0.0git (https://github.com/RadeonOpenCompute/llvm-project roc-6.4.0 25133 c7fe45cf4b819c5991fe208aaa96edf142730f1d)"
	.section	".note.GNU-stack","",@progbits
	.addrsig
	.addrsig_sym __hip_cuid_39a4cf2afdce2647
	.amdgpu_metadata
---
amdhsa.kernels:
  - .agpr_count:     256
    .args:
      - .actual_access:  read_only
        .address_space:  global
        .offset:         0
        .size:           8
        .value_kind:     global_buffer
      - .actual_access:  read_only
        .address_space:  global
        .offset:         8
        .size:           8
        .value_kind:     global_buffer
      - .actual_access:  read_only
        .address_space:  global
        .offset:         16
        .size:           8
        .value_kind:     global_buffer
      - .actual_access:  read_only
        .address_space:  global
        .offset:         24
        .size:           8
        .value_kind:     global_buffer
      - .actual_access:  read_only
        .address_space:  global
        .offset:         32
        .size:           8
        .value_kind:     global_buffer
      - .offset:         40
        .size:           8
        .value_kind:     by_value
      - .address_space:  global
        .offset:         48
        .size:           8
        .value_kind:     global_buffer
      - .address_space:  global
        .offset:         56
        .size:           8
        .value_kind:     global_buffer
      - .address_space:  global
        .offset:         64
        .size:           8
        .value_kind:     global_buffer
      - .address_space:  global
        .offset:         72
        .size:           8
        .value_kind:     global_buffer
      - .offset:         80
        .size:           4
        .value_kind:     by_value
      - .address_space:  global
        .offset:         88
        .size:           8
        .value_kind:     global_buffer
      - .address_space:  global
        .offset:         96
        .size:           8
        .value_kind:     global_buffer
    .group_segment_fixed_size: 30800
    .kernarg_segment_align: 8
    .kernarg_segment_size: 104
    .language:       OpenCL C
    .language_version:
      - 2
      - 0
    .max_flat_workgroup_size: 55
    .name:           bluestein_single_fwd_len1925_dim1_dp_op_CI_CI
    .private_segment_fixed_size: 1052
    .sgpr_count:     46
    .sgpr_spill_count: 0
    .symbol:         bluestein_single_fwd_len1925_dim1_dp_op_CI_CI.kd
    .uniform_work_group_size: 1
    .uses_dynamic_stack: false
    .vgpr_count:     512
    .vgpr_spill_count: 262
    .wavefront_size: 64
amdhsa.target:   amdgcn-amd-amdhsa--gfx942
amdhsa.version:
  - 1
  - 2
...

	.end_amdgpu_metadata
